;; amdgpu-corpus repo=ROCm/rocFFT kind=compiled arch=gfx1201 opt=O3
	.text
	.amdgcn_target "amdgcn-amd-amdhsa--gfx1201"
	.amdhsa_code_object_version 6
	.protected	bluestein_single_back_len1326_dim1_sp_op_CI_CI ; -- Begin function bluestein_single_back_len1326_dim1_sp_op_CI_CI
	.globl	bluestein_single_back_len1326_dim1_sp_op_CI_CI
	.p2align	8
	.type	bluestein_single_back_len1326_dim1_sp_op_CI_CI,@function
bluestein_single_back_len1326_dim1_sp_op_CI_CI: ; @bluestein_single_back_len1326_dim1_sp_op_CI_CI
; %bb.0:
	s_load_b128 s[8:11], s[0:1], 0x28
	v_mul_u32_u24_e32 v1, 0x283, v0
	v_mov_b32_e32 v83, 0
	s_mov_b32 s2, exec_lo
	s_delay_alu instid0(VALU_DEP_2) | instskip(NEXT) | instid1(VALU_DEP_1)
	v_lshrrev_b32_e32 v1, 16, v1
	v_lshl_add_u32 v82, ttmp9, 1, v1
	s_wait_kmcnt 0x0
	s_delay_alu instid0(VALU_DEP_1)
	v_cmpx_gt_u64_e64 s[8:9], v[82:83]
	s_cbranch_execz .LBB0_23
; %bb.1:
	v_mul_lo_u16 v2, 0x66, v1
	s_clause 0x1
	s_load_b64 s[8:9], s[0:1], 0x0
	s_load_b64 s[12:13], s[0:1], 0x38
	v_and_b32_e32 v1, 1, v1
	v_sub_nc_u16 v0, v0, v2
	s_delay_alu instid0(VALU_DEP_2) | instskip(NEXT) | instid1(VALU_DEP_2)
	v_cmp_eq_u32_e32 vcc_lo, 1, v1
	v_and_b32_e32 v102, 0xffff, v0
	v_cndmask_b32_e64 v60, 0, 0x52e, vcc_lo
	v_cmp_gt_u16_e32 vcc_lo, 0x4e, v0
	s_delay_alu instid0(VALU_DEP_3) | instskip(NEXT) | instid1(VALU_DEP_3)
	v_lshlrev_b32_e32 v101, 3, v102
	v_lshlrev_b32_e32 v103, 3, v60
	s_and_saveexec_b32 s3, vcc_lo
	s_cbranch_execz .LBB0_3
; %bb.2:
	s_load_b64 s[4:5], s[0:1], 0x18
	s_delay_alu instid0(VALU_DEP_1) | instskip(SKIP_1) | instid1(VALU_DEP_2)
	v_add_nc_u32_e32 v71, v103, v101
	v_lshl_add_u32 v72, v102, 3, v103
	v_add_nc_u32_e32 v74, 0x800, v71
	v_add_nc_u32_e32 v76, 0x1400, v71
	s_wait_kmcnt 0x0
	s_load_b128 s[4:7], s[4:5], 0x0
	s_wait_kmcnt 0x0
	v_mad_co_u64_u32 v[0:1], null, s6, v82, 0
	v_mad_co_u64_u32 v[2:3], null, s4, v102, 0
	s_delay_alu instid0(VALU_DEP_1) | instskip(NEXT) | instid1(VALU_DEP_1)
	v_mad_co_u64_u32 v[4:5], null, s7, v82, v[1:2]
	v_mad_co_u64_u32 v[5:6], null, s5, v102, v[3:4]
	v_mov_b32_e32 v1, v4
	s_mul_u64 s[4:5], s[4:5], 0x270
	s_delay_alu instid0(VALU_DEP_1) | instskip(NEXT) | instid1(VALU_DEP_3)
	v_lshlrev_b64_e32 v[0:1], 3, v[0:1]
	v_mov_b32_e32 v3, v5
	s_clause 0x3
	global_load_b64 v[4:5], v101, s[8:9]
	global_load_b64 v[6:7], v101, s[8:9] offset:624
	global_load_b64 v[8:9], v101, s[8:9] offset:1248
	;; [unrolled: 1-line block ×3, first 2 shown]
	v_add_co_u32 v18, s2, s10, v0
	v_lshlrev_b64_e32 v[2:3], 3, v[2:3]
	v_add_co_ci_u32_e64 v19, s2, s11, v1, s2
	s_clause 0xa
	global_load_b64 v[0:1], v101, s[8:9] offset:2496
	global_load_b64 v[12:13], v101, s[8:9] offset:3120
	;; [unrolled: 1-line block ×11, first 2 shown]
	v_add_co_u32 v2, s2, v18, v2
	s_wait_alu 0xf1ff
	v_add_co_ci_u32_e64 v3, s2, v19, v3, s2
	s_wait_alu 0xfffe
	s_delay_alu instid0(VALU_DEP_2) | instskip(SKIP_1) | instid1(VALU_DEP_2)
	v_add_co_u32 v18, s2, v2, s4
	s_wait_alu 0xf1ff
	v_add_co_ci_u32_e64 v19, s2, s5, v3, s2
	global_load_b64 v[2:3], v[2:3], off
	v_add_co_u32 v28, s2, v18, s4
	s_wait_alu 0xf1ff
	v_add_co_ci_u32_e64 v29, s2, s5, v19, s2
	s_delay_alu instid0(VALU_DEP_2) | instskip(SKIP_1) | instid1(VALU_DEP_2)
	v_add_co_u32 v36, s2, v28, s4
	s_wait_alu 0xf1ff
	v_add_co_ci_u32_e64 v37, s2, s5, v29, s2
	s_delay_alu instid0(VALU_DEP_2) | instskip(SKIP_1) | instid1(VALU_DEP_2)
	v_add_co_u32 v38, s2, v36, s4
	s_wait_alu 0xf1ff
	v_add_co_ci_u32_e64 v39, s2, s5, v37, s2
	s_clause 0x2
	global_load_b64 v[18:19], v[18:19], off
	global_load_b64 v[28:29], v[28:29], off
	;; [unrolled: 1-line block ×3, first 2 shown]
	v_add_co_u32 v40, s2, v38, s4
	s_wait_alu 0xf1ff
	v_add_co_ci_u32_e64 v41, s2, s5, v39, s2
	global_load_b64 v[38:39], v[38:39], off
	v_add_co_u32 v42, s2, v40, s4
	s_wait_alu 0xf1ff
	v_add_co_ci_u32_e64 v43, s2, s5, v41, s2
	global_load_b64 v[40:41], v[40:41], off
	;; [unrolled: 4-line block ×11, first 2 shown]
	v_add_co_u32 v63, s2, v61, s4
	s_wait_alu 0xf1ff
	v_add_co_ci_u32_e64 v64, s2, s5, v62, s2
	global_load_b64 v[65:66], v101, s[8:9] offset:9360
	global_load_b64 v[61:62], v[61:62], off
	global_load_b64 v[67:68], v101, s[8:9] offset:9984
	global_load_b64 v[63:64], v[63:64], off
	s_wait_loadcnt 0x12
	v_mul_f32_e32 v69, v3, v5
	v_mul_f32_e32 v5, v2, v5
	s_wait_loadcnt 0x11
	s_delay_alu instid0(VALU_DEP_2) | instskip(NEXT) | instid1(VALU_DEP_2)
	v_dual_fmac_f32 v69, v2, v4 :: v_dual_mul_f32 v2, v19, v7
	v_fma_f32 v70, v3, v4, -v5
	s_wait_loadcnt 0x10
	v_dual_mul_f32 v3, v18, v7 :: v_dual_mul_f32 v4, v29, v9
	s_delay_alu instid0(VALU_DEP_3) | instskip(SKIP_1) | instid1(VALU_DEP_3)
	v_dual_mul_f32 v5, v28, v9 :: v_dual_fmac_f32 v2, v18, v6
	v_add_nc_u32_e32 v73, 0x400, v71
	v_dual_fmac_f32 v4, v28, v8 :: v_dual_add_nc_u32 v75, 0x1000, v71
	s_wait_loadcnt 0xf
	v_mul_f32_e32 v7, v36, v11
	s_wait_loadcnt 0xe
	v_mul_f32_e32 v9, v39, v1
	v_fma_f32 v5, v29, v8, -v5
	v_mul_f32_e32 v1, v38, v1
	s_wait_loadcnt 0xd
	v_mul_f32_e32 v8, v40, v13
	v_fma_f32 v3, v19, v6, -v3
	v_mul_f32_e32 v6, v37, v11
	v_add_nc_u32_e32 v77, 0x1800, v71
	v_fma_f32 v7, v37, v10, -v7
	v_fmac_f32_e32 v9, v38, v0
	ds_store_b64 v72, v[69:70]
	v_fmac_f32_e32 v6, v36, v10
	v_fma_f32 v10, v39, v0, -v1
	ds_store_2addr_b64 v71, v[2:3], v[4:5] offset0:78 offset1:156
	ds_store_2addr_b64 v73, v[6:7], v[9:10] offset0:106 offset1:184
	s_wait_loadcnt 0xb
	v_mul_f32_e32 v0, v45, v17
	s_wait_loadcnt 0xa
	v_mul_f32_e32 v2, v47, v21
	v_mul_f32_e32 v11, v41, v13
	;; [unrolled: 1-line block ×3, first 2 shown]
	v_dual_mul_f32 v3, v46, v21 :: v_dual_fmac_f32 v0, v44, v16
	s_delay_alu instid0(VALU_DEP_4) | instskip(NEXT) | instid1(VALU_DEP_4)
	v_fmac_f32_e32 v2, v46, v20
	v_fmac_f32_e32 v11, v40, v12
	v_fma_f32 v12, v41, v12, -v8
	s_wait_loadcnt 0x9
	v_mul_f32_e32 v4, v49, v23
	s_wait_loadcnt 0x8
	v_dual_mul_f32 v5, v48, v23 :: v_dual_mul_f32 v6, v51, v25
	v_mul_f32_e32 v13, v43, v15
	v_add_nc_u32_e32 v78, 0x1c00, v71
	v_fmac_f32_e32 v4, v48, v22
	s_delay_alu instid0(VALU_DEP_4)
	v_fmac_f32_e32 v6, v50, v24
	s_wait_loadcnt 0x7
	v_dual_fmac_f32 v13, v42, v14 :: v_dual_mul_f32 v8, v53, v27
	v_mul_f32_e32 v15, v42, v15
	s_wait_loadcnt 0x6
	v_mul_f32_e32 v10, v55, v31
	v_mul_f32_e32 v9, v52, v27
	v_fmac_f32_e32 v8, v52, v26
	v_fma_f32 v14, v43, v14, -v15
	v_fma_f32 v1, v45, v16, -v1
	v_fmac_f32_e32 v10, v54, v30
	v_fma_f32 v9, v53, v26, -v9
	ds_store_2addr_b64 v74, v[11:12], v[13:14] offset0:134 offset1:212
	s_wait_loadcnt 0x5
	v_mul_f32_e32 v12, v57, v33
	v_mul_f32_e32 v7, v50, v25
	v_mul_f32_e32 v11, v54, v31
	s_wait_loadcnt 0x4
	v_dual_mul_f32 v14, v59, v35 :: v_dual_mul_f32 v13, v56, v33
	s_wait_loadcnt 0x0
	v_dual_mul_f32 v16, v62, v66 :: v_dual_mul_f32 v19, v63, v68
	v_dual_mul_f32 v15, v58, v35 :: v_dual_mul_f32 v18, v64, v68
	v_mul_f32_e32 v17, v61, v66
	v_fma_f32 v3, v47, v20, -v3
	v_fma_f32 v5, v49, v22, -v5
	v_fmac_f32_e32 v12, v56, v32
	v_fmac_f32_e32 v18, v63, v67
	v_fma_f32 v7, v51, v24, -v7
	v_fma_f32 v11, v55, v30, -v11
	v_fmac_f32_e32 v14, v58, v34
	v_fma_f32 v13, v57, v32, -v13
	v_fmac_f32_e32 v16, v61, v65
	v_fma_f32 v15, v59, v34, -v15
	v_fma_f32 v17, v62, v65, -v17
	;; [unrolled: 1-line block ×3, first 2 shown]
	v_add_nc_u32_e32 v20, 0x2000, v71
	ds_store_2addr_b64 v75, v[0:1], v[2:3] offset0:34 offset1:112
	ds_store_2addr_b64 v76, v[4:5], v[6:7] offset0:62 offset1:140
	;; [unrolled: 1-line block ×5, first 2 shown]
.LBB0_3:
	s_or_b32 exec_lo, exec_lo, s3
	v_mov_b32_e32 v0, 0
	v_mov_b32_e32 v1, 0
                                        ; kill: def $vgpr2 killed $sgpr0 killed $exec
	global_wb scope:SCOPE_SE
	s_wait_dscnt 0x0
	s_wait_kmcnt 0x0
	s_barrier_signal -1
	s_barrier_wait -1
	global_inv scope:SCOPE_SE
                                        ; implicit-def: $vgpr18
                                        ; implicit-def: $vgpr12
                                        ; implicit-def: $vgpr8
                                        ; implicit-def: $vgpr4
                                        ; implicit-def: $vgpr26
                                        ; implicit-def: $vgpr38
                                        ; implicit-def: $vgpr42
                                        ; implicit-def: $vgpr22
	s_and_saveexec_b32 s2, vcc_lo
	s_cbranch_execz .LBB0_5
; %bb.4:
	v_lshl_add_u32 v24, v60, 3, v101
	ds_load_2addr_b64 v[0:3], v24 offset1:78
	ds_load_2addr_b64 v[20:23], v24 offset0:156 offset1:234
	v_add_nc_u32_e32 v4, 0x800, v24
	v_add_nc_u32_e32 v5, 0xc00, v24
	;; [unrolled: 1-line block ×5, first 2 shown]
	ds_load_2addr_b64 v[40:43], v4 offset0:56 offset1:134
	ds_load_2addr_b64 v[36:39], v5 offset0:84 offset1:162
	;; [unrolled: 1-line block ×6, first 2 shown]
	ds_load_b64 v[26:27], v24 offset:9984
.LBB0_5:
	s_wait_alu 0xfffe
	s_or_b32 exec_lo, exec_lo, s2
	s_wait_dscnt 0x0
	v_dual_sub_f32 v46, v3, v27 :: v_dual_sub_f32 v47, v2, v26
	v_dual_add_f32 v52, v26, v2 :: v_dual_add_f32 v53, v27, v3
	v_dual_sub_f32 v49, v20, v6 :: v_dual_add_f32 v54, v6, v20
	s_delay_alu instid0(VALU_DEP_3) | instskip(NEXT) | instid1(VALU_DEP_4)
	v_dual_mul_f32 v65, 0xbeb8f4ab, v46 :: v_dual_sub_f32 v48, v21, v7
	v_dual_mul_f32 v75, 0xbf2c7751, v46 :: v_dual_mul_f32 v78, 0xbf2c7751, v47
	s_delay_alu instid0(VALU_DEP_2) | instskip(SKIP_1) | instid1(VALU_DEP_3)
	v_dual_add_f32 v55, v7, v21 :: v_dual_fmamk_f32 v24, v52, 0x3f6eb680, v65
	v_mul_f32_e32 v69, 0xbeb8f4ab, v47
	v_fmamk_f32 v28, v52, 0x3f3d2fb0, v75
	s_delay_alu instid0(VALU_DEP_4)
	v_fma_f32 v29, 0x3f3d2fb0, v53, -v78
	v_dual_mul_f32 v68, 0xbf2c7751, v48 :: v_dual_add_f32 v57, v5, v23
	v_add_f32_e32 v24, v24, v0
	v_fma_f32 v25, 0x3f6eb680, v53, -v69
	v_dual_mul_f32 v70, 0xbf2c7751, v49 :: v_dual_sub_f32 v51, v22, v4
	v_dual_mul_f32 v79, 0xbf7ee86f, v48 :: v_dual_sub_f32 v50, v23, v5
	s_delay_alu instid0(VALU_DEP_3) | instskip(SKIP_1) | instid1(VALU_DEP_4)
	v_dual_add_f32 v25, v25, v1 :: v_dual_add_f32 v28, v28, v0
	v_add_f32_e32 v29, v29, v1
	v_fma_f32 v32, 0x3f3d2fb0, v55, -v70
	v_mul_f32_e32 v90, 0xbf65296c, v46
	v_fmamk_f32 v33, v54, 0x3dbcf732, v79
	v_fmamk_f32 v31, v54, 0x3f3d2fb0, v68
	v_mul_f32_e32 v81, 0xbf7ee86f, v49
	v_dual_mul_f32 v73, 0xbf65296c, v50 :: v_dual_mul_f32 v74, 0xbf65296c, v51
	s_delay_alu instid0(VALU_DEP_4) | instskip(NEXT) | instid1(VALU_DEP_4)
	v_dual_add_f32 v25, v32, v25 :: v_dual_add_f32 v28, v33, v28
	v_add_f32_e32 v24, v31, v24
	s_delay_alu instid0(VALU_DEP_4) | instskip(SKIP_4) | instid1(VALU_DEP_4)
	v_fma_f32 v31, 0x3dbcf732, v55, -v81
	v_fmamk_f32 v30, v52, 0x3ee437d1, v90
	v_fma_f32 v33, 0x3ee437d1, v57, -v74
	v_mul_f32_e32 v96, 0xbf4c4adb, v48
	v_dual_mul_f32 v86, 0xbf4c4adb, v51 :: v_dual_sub_f32 v119, v40, v10
	v_dual_add_f32 v29, v31, v29 :: v_dual_add_f32 v30, v30, v0
	s_delay_alu instid0(VALU_DEP_4) | instskip(NEXT) | instid1(VALU_DEP_4)
	v_dual_add_f32 v25, v33, v25 :: v_dual_add_f32 v56, v4, v22
	v_fmamk_f32 v31, v54, 0xbf1a4643, v96
	v_dual_mul_f32 v84, 0xbf4c4adb, v50 :: v_dual_sub_f32 v117, v41, v11
	s_delay_alu instid0(VALU_DEP_3) | instskip(NEXT) | instid1(VALU_DEP_3)
	v_dual_add_f32 v59, v11, v41 :: v_dual_fmamk_f32 v32, v56, 0x3ee437d1, v73
	v_dual_add_f32 v30, v31, v30 :: v_dual_mul_f32 v77, 0xbf7ee86f, v119
	v_fma_f32 v31, 0xbf1a4643, v57, -v86
	s_delay_alu instid0(VALU_DEP_4) | instskip(NEXT) | instid1(VALU_DEP_4)
	v_fmamk_f32 v34, v56, 0xbf1a4643, v84
	v_dual_add_f32 v24, v32, v24 :: v_dual_mul_f32 v91, 0xbe3c28d5, v119
	s_delay_alu instid0(VALU_DEP_4)
	v_fma_f32 v33, 0x3dbcf732, v59, -v77
	v_mul_f32_e32 v100, 0x3e3c28d5, v50
	v_dual_add_f32 v58, v10, v40 :: v_dual_mul_f32 v105, 0x3f763a35, v117
	v_dual_mul_f32 v76, 0xbf7ee86f, v117 :: v_dual_add_f32 v61, v8, v42
	v_dual_mul_f32 v88, 0xbe3c28d5, v117 :: v_dual_sub_f32 v153, v37, v15
	v_add_f32_e32 v29, v31, v29
	v_dual_add_f32 v25, v33, v25 :: v_dual_add_f32 v28, v34, v28
	v_dual_fmamk_f32 v31, v56, 0xbf7ba420, v100 :: v_dual_sub_f32 v144, v42, v8
	s_delay_alu instid0(VALU_DEP_4) | instskip(SKIP_1) | instid1(VALU_DEP_3)
	v_mul_f32_e32 v85, 0xbf4c4adb, v153
	v_dual_sub_f32 v140, v43, v9 :: v_dual_sub_f32 v157, v36, v14
	v_dual_add_f32 v30, v31, v30 :: v_dual_mul_f32 v83, 0xbf763a35, v144
	v_fma_f32 v31, 0xbf7ba420, v59, -v91
	v_fmamk_f32 v32, v58, 0x3dbcf732, v76
	v_dual_mul_f32 v95, 0x3f06c442, v144 :: v_dual_add_f32 v62, v9, v43
	v_mul_f32_e32 v93, 0x3f06c442, v140
	s_delay_alu instid0(VALU_DEP_3) | instskip(SKIP_1) | instid1(VALU_DEP_4)
	v_dual_add_f32 v29, v31, v29 :: v_dual_add_f32 v24, v32, v24
	v_fmamk_f32 v31, v58, 0xbe8c1d8e, v105
	v_fma_f32 v33, 0xbe8c1d8e, v62, -v83
	v_fmamk_f32 v34, v58, 0xbf7ba420, v88
	v_dual_add_f32 v63, v14, v36 :: v_dual_add_f32 v64, v15, v37
	s_delay_alu instid0(VALU_DEP_4) | instskip(SKIP_1) | instid1(VALU_DEP_4)
	v_dual_add_f32 v67, v13, v39 :: v_dual_add_f32 v30, v31, v30
	v_mul_f32_e32 v87, 0xbf4c4adb, v157
	v_dual_add_f32 v25, v33, v25 :: v_dual_add_f32 v28, v34, v28
	v_fma_f32 v31, 0xbf59a7d5, v62, -v95
	v_mul_f32_e32 v80, 0xbf763a35, v140
	v_dual_fmamk_f32 v34, v61, 0xbf59a7d5, v93 :: v_dual_sub_f32 v173, v39, v13
	v_dual_mul_f32 v98, 0x3f763a35, v153 :: v_dual_sub_f32 v187, v16, v18
	s_delay_alu instid0(VALU_DEP_3) | instskip(NEXT) | instid1(VALU_DEP_3)
	v_dual_add_f32 v29, v31, v29 :: v_dual_fmamk_f32 v32, v61, 0xbe8c1d8e, v80
	v_dual_add_f32 v28, v34, v28 :: v_dual_mul_f32 v99, 0x3f763a35, v157
	v_fmamk_f32 v31, v63, 0xbf1a4643, v85
	v_fma_f32 v33, 0xbf1a4643, v64, -v87
	s_delay_alu instid0(VALU_DEP_4) | instskip(SKIP_3) | instid1(VALU_DEP_4)
	v_add_f32_e32 v24, v32, v24
	v_mul_f32_e32 v108, 0x3f2c7751, v140
	v_dual_sub_f32 v178, v38, v12 :: v_dual_mul_f32 v97, 0xbe3c28d5, v187
	v_dual_add_f32 v66, v12, v38 :: v_dual_mul_f32 v109, 0x3eb8f4ab, v187
	v_add_f32_e32 v24, v31, v24
	v_fma_f32 v31, 0xbe8c1d8e, v64, -v99
	v_add_f32_e32 v25, v33, v25
	v_fmamk_f32 v32, v61, 0x3f3d2fb0, v108
	v_dual_fmamk_f32 v34, v63, 0xbe8c1d8e, v98 :: v_dual_add_f32 v71, v18, v16
	s_delay_alu instid0(VALU_DEP_4) | instskip(SKIP_1) | instid1(VALU_DEP_4)
	v_dual_add_f32 v29, v31, v29 :: v_dual_mul_f32 v92, 0xbf06c442, v178
	v_mul_f32_e32 v120, 0xbf65296c, v47
	v_dual_add_f32 v30, v32, v30 :: v_dual_mul_f32 v89, 0xbf06c442, v173
	v_dual_sub_f32 v186, v17, v19 :: v_dual_mul_f32 v121, 0xbf4c4adb, v49
	s_delay_alu instid0(VALU_DEP_4) | instskip(SKIP_1) | instid1(VALU_DEP_4)
	v_fma_f32 v31, 0xbf59a7d5, v67, -v92
	v_add_f32_e32 v28, v34, v28
	v_dual_fmamk_f32 v33, v66, 0xbf59a7d5, v89 :: v_dual_add_f32 v72, v19, v17
	v_mul_f32_e32 v169, 0xbf7ee86f, v46
	s_delay_alu instid0(VALU_DEP_4) | instskip(SKIP_4) | instid1(VALU_DEP_4)
	v_add_f32_e32 v25, v31, v25
	v_fma_f32 v31, 0x3ee437d1, v53, -v120
	v_mul_f32_e32 v106, 0x3f65296c, v178
	v_fma_f32 v44, 0xbf1a4643, v55, -v121
	v_dual_add_f32 v24, v33, v24 :: v_dual_mul_f32 v107, 0x3eb8f4ab, v186
	v_add_f32_e32 v31, v31, v1
	v_mul_f32_e32 v110, 0xbeb8f4ab, v153
	v_fma_f32 v33, 0xbf7ba420, v72, -v97
	v_mul_f32_e32 v118, 0x3e3c28d5, v51
	v_dual_mul_f32 v190, 0x3f06c442, v48 :: v_dual_mul_f32 v203, 0x3f06c442, v49
	s_delay_alu instid0(VALU_DEP_4) | instskip(NEXT) | instid1(VALU_DEP_4)
	v_dual_add_f32 v31, v44, v31 :: v_dual_fmamk_f32 v32, v63, 0x3f6eb680, v110
	v_add_f32_e32 v25, v33, v25
	s_delay_alu instid0(VALU_DEP_4)
	v_fma_f32 v33, 0xbf7ba420, v57, -v118
	v_mul_f32_e32 v104, 0x3f65296c, v173
	v_mul_f32_e32 v94, 0xbe3c28d5, v186
	v_dual_add_f32 v32, v32, v30 :: v_dual_mul_f32 v111, 0xbf7ee86f, v173
	v_fma_f32 v30, 0x3ee437d1, v67, -v106
	v_fma_f32 v35, 0x3f6eb680, v72, -v109
	v_add_f32_e32 v33, v33, v31
	v_fma_f32 v122, 0xbf59a7d5, v55, -v203
	s_delay_alu instid0(VALU_DEP_4) | instskip(SKIP_3) | instid1(VALU_DEP_4)
	v_dual_mul_f32 v116, 0xbf7ee86f, v178 :: v_dual_add_f32 v29, v30, v29
	v_fmamk_f32 v34, v66, 0x3ee437d1, v104
	v_mul_f32_e32 v115, 0x3f763a35, v119
	v_mul_f32_e32 v112, 0xbf06c442, v186
	v_fma_f32 v44, 0x3dbcf732, v67, -v116
	v_fmamk_f32 v30, v71, 0xbf7ba420, v94
	v_dual_add_f32 v31, v35, v29 :: v_dual_add_f32 v28, v34, v28
	v_fmamk_f32 v34, v71, 0x3f6eb680, v107
	v_mul_f32_e32 v114, 0x3f2c7751, v144
	s_delay_alu instid0(VALU_DEP_4) | instskip(NEXT) | instid1(VALU_DEP_3)
	v_dual_add_f32 v24, v30, v24 :: v_dual_fmamk_f32 v29, v71, 0xbf59a7d5, v112
	v_dual_mul_f32 v113, 0xbeb8f4ab, v157 :: v_dual_add_f32 v30, v34, v28
	v_fmamk_f32 v28, v66, 0x3dbcf732, v111
	v_fma_f32 v34, 0xbe8c1d8e, v59, -v115
	v_mul_f32_e32 v184, 0xbf7ee86f, v47
	v_dual_mul_f32 v174, 0xbe3c28d5, v48 :: v_dual_mul_f32 v185, 0xbe3c28d5, v49
	s_delay_alu instid0(VALU_DEP_4) | instskip(NEXT) | instid1(VALU_DEP_4)
	v_add_f32_e32 v28, v28, v32
	v_add_f32_e32 v32, v34, v33
	v_fma_f32 v33, 0x3f3d2fb0, v62, -v114
	v_fma_f32 v34, 0x3dbcf732, v53, -v184
	;; [unrolled: 1-line block ×3, first 2 shown]
	v_dual_add_f32 v28, v29, v28 :: v_dual_mul_f32 v175, 0x3f763a35, v50
	s_delay_alu instid0(VALU_DEP_4) | instskip(SKIP_4) | instid1(VALU_DEP_3)
	v_add_f32_e32 v29, v33, v32
	v_fma_f32 v32, 0x3f6eb680, v64, -v113
	v_dual_fmamk_f32 v33, v52, 0x3dbcf732, v169 :: v_dual_add_f32 v34, v34, v1
	v_mul_f32_e32 v183, 0x3f763a35, v51
	v_mul_f32_e32 v176, 0x3eb8f4ab, v117
	v_dual_add_f32 v29, v32, v29 :: v_dual_add_f32 v32, v33, v0
	v_fmamk_f32 v33, v54, 0xbf7ba420, v174
	v_mul_f32_e32 v163, 0xbf65296c, v140
	v_mul_f32_e32 v177, 0x3f4c4adb, v178
	;; [unrolled: 1-line block ×4, first 2 shown]
	v_dual_add_f32 v32, v33, v32 :: v_dual_add_f32 v33, v35, v34
	v_fmamk_f32 v34, v56, 0xbe8c1d8e, v175
	v_mul_f32_e32 v189, 0xbf763a35, v46
	v_fmamk_f32 v126, v71, 0xbf1a4643, v188
	v_mul_f32_e32 v179, 0x3f2c7751, v187
	v_mul_f32_e32 v152, 0x3f4c4adb, v173
	v_add_f32_e32 v32, v34, v32
	v_fmamk_f32 v34, v58, 0x3f6eb680, v176
	v_fmamk_f32 v45, v52, 0xbe8c1d8e, v189
	v_mul_f32_e32 v194, 0xbf4c4adb, v187
	v_fma_f32 v125, 0x3f3d2fb0, v72, -v179
	v_mul_f32_e32 v202, 0xbf763a35, v47
	v_add_f32_e32 v32, v34, v32
	v_fmamk_f32 v34, v61, 0x3ee437d1, v163
	v_mul_f32_e32 v197, 0x3f2c7751, v50
	v_fma_f32 v127, 0xbf1a4643, v72, -v194
	v_dual_mul_f32 v158, 0x3f2c7751, v186 :: v_dual_mul_f32 v201, 0x3f2c7751, v51
	s_delay_alu instid0(VALU_DEP_4)
	v_add_f32_e32 v32, v34, v32
	v_fmamk_f32 v34, v63, 0xbf59a7d5, v164
	v_mul_f32_e32 v200, 0xbf65296c, v119
	v_fma_f32 v35, 0xbe8c1d8e, v57, -v183
	v_mul_f32_e32 v181, 0xbf65296c, v144
	v_mul_f32_e32 v182, 0xbf06c442, v157
	v_add_f32_e32 v32, v34, v32
	s_delay_alu instid0(VALU_DEP_4) | instskip(SKIP_3) | instid1(VALU_DEP_4)
	v_dual_fmamk_f32 v34, v66, 0xbf1a4643, v152 :: v_dual_add_f32 v33, v35, v33
	v_mul_f32_e32 v195, 0xbf65296c, v117
	v_fmamk_f32 v123, v71, 0x3f3d2fb0, v158
	v_mul_f32_e32 v198, 0x3f7ee86f, v157
	v_add_f32_e32 v32, v34, v32
	v_add_f32_e32 v34, v45, v0
	v_fma_f32 v45, 0xbe8c1d8e, v53, -v202
	v_mul_f32_e32 v192, 0xbeb8f4ab, v173
	v_mul_f32_e32 v196, 0xbeb8f4ab, v178
	s_clause 0x1
	s_load_b64 s[4:5], s[0:1], 0x20
	s_load_b64 s[2:3], s[0:1], 0x8
	v_add_f32_e32 v29, v44, v29
	v_dual_add_f32 v45, v45, v1 :: v_dual_mul_f32 v124, 0xbf06c442, v187
	global_wb scope:SCOPE_SE
	s_wait_kmcnt 0x0
	s_barrier_signal -1
	s_barrier_wait -1
	v_add_f32_e32 v45, v122, v45
	v_fma_f32 v122, 0x3f3d2fb0, v57, -v201
	v_fma_f32 v44, 0xbf59a7d5, v72, -v124
	global_inv scope:SCOPE_SE
	v_add_f32_e32 v45, v122, v45
	v_add_f32_e32 v29, v44, v29
	v_fma_f32 v122, 0x3ee437d1, v59, -v200
	s_delay_alu instid0(VALU_DEP_1) | instskip(NEXT) | instid1(VALU_DEP_1)
	v_dual_mul_f32 v180, 0x3eb8f4ab, v119 :: v_dual_add_f32 v45, v122, v45
	v_fma_f32 v35, 0x3f6eb680, v59, -v180
	s_delay_alu instid0(VALU_DEP_1) | instskip(SKIP_1) | instid1(VALU_DEP_1)
	v_add_f32_e32 v33, v35, v33
	v_fma_f32 v35, 0x3ee437d1, v62, -v181
	v_add_f32_e32 v33, v35, v33
	v_fma_f32 v35, 0xbf59a7d5, v64, -v182
	s_delay_alu instid0(VALU_DEP_1) | instskip(SKIP_1) | instid1(VALU_DEP_1)
	v_add_f32_e32 v33, v35, v33
	v_fma_f32 v35, 0xbf1a4643, v67, -v177
	v_add_f32_e32 v33, v35, v33
	v_fmamk_f32 v35, v54, 0xbf59a7d5, v190
	s_delay_alu instid0(VALU_DEP_1) | instskip(NEXT) | instid1(VALU_DEP_1)
	v_dual_add_f32 v34, v35, v34 :: v_dual_fmamk_f32 v35, v56, 0x3f3d2fb0, v197
	v_dual_add_f32 v34, v35, v34 :: v_dual_fmamk_f32 v35, v58, 0x3ee437d1, v195
	s_delay_alu instid0(VALU_DEP_1) | instskip(NEXT) | instid1(VALU_DEP_1)
	v_dual_mul_f32 v193, 0xbe3c28d5, v140 :: v_dual_add_f32 v34, v35, v34
	v_fmamk_f32 v35, v61, 0xbf7ba420, v193
	s_delay_alu instid0(VALU_DEP_1) | instskip(NEXT) | instid1(VALU_DEP_1)
	v_dual_mul_f32 v191, 0x3f7ee86f, v153 :: v_dual_add_f32 v34, v35, v34
	v_fmamk_f32 v35, v63, 0x3dbcf732, v191
	s_delay_alu instid0(VALU_DEP_1) | instskip(NEXT) | instid1(VALU_DEP_1)
	v_dual_mul_f32 v199, 0xbe3c28d5, v144 :: v_dual_add_f32 v34, v35, v34
	v_fma_f32 v122, 0xbf7ba420, v62, -v199
	s_delay_alu instid0(VALU_DEP_1) | instskip(SKIP_1) | instid1(VALU_DEP_1)
	v_add_f32_e32 v35, v122, v45
	v_fma_f32 v45, 0x3dbcf732, v64, -v198
	v_dual_fmamk_f32 v122, v66, 0x3f6eb680, v192 :: v_dual_add_f32 v35, v45, v35
	v_fma_f32 v45, 0x3f6eb680, v67, -v196
	s_delay_alu instid0(VALU_DEP_2) | instskip(NEXT) | instid1(VALU_DEP_2)
	v_add_f32_e32 v122, v122, v34
	v_dual_add_f32 v34, v123, v32 :: v_dual_add_f32 v45, v45, v35
	s_delay_alu instid0(VALU_DEP_2) | instskip(NEXT) | instid1(VALU_DEP_2)
	v_dual_add_f32 v35, v125, v33 :: v_dual_add_f32 v32, v126, v122
	v_add_f32_e32 v33, v127, v45
	s_and_saveexec_b32 s0, vcc_lo
	s_cbranch_execz .LBB0_7
; %bb.6:
	v_dual_mul_f32 v139, 0xbe3c28d5, v47 :: v_dual_mul_f32 v138, 0xbe3c28d5, v46
	v_dual_mul_f32 v137, 0x3eb8f4ab, v49 :: v_dual_mul_f32 v130, 0x3eb8f4ab, v48
	;; [unrolled: 1-line block ×3, first 2 shown]
	s_delay_alu instid0(VALU_DEP_3) | instskip(NEXT) | instid1(VALU_DEP_3)
	v_fma_f32 v45, 0xbf7ba420, v52, -v138
	v_fmamk_f32 v122, v55, 0x3f6eb680, v137
	s_delay_alu instid0(VALU_DEP_4)
	v_fma_f32 v125, 0x3f6eb680, v54, -v130
	v_mul_f32_e32 v147, 0xbf4c4adb, v144
	v_mul_f32_e32 v145, 0xbf763a35, v178
	v_add_f32_e32 v45, v45, v0
	v_mul_f32_e32 v149, 0xbf06c442, v46
	v_mul_f32_e32 v136, 0x3f4c4adb, v117
	v_dual_mul_f32 v161, 0xbf7ee86f, v51 :: v_dual_mul_f32 v146, 0xbf7ee86f, v50
	s_delay_alu instid0(VALU_DEP_4)
	v_add_f32_e32 v45, v125, v45
	v_fmamk_f32 v44, v53, 0xbf7ba420, v139
	v_mul_f32_e32 v141, 0xbf06c442, v51
	v_fma_f32 v133, 0xbf1a4643, v58, -v136
	v_mul_f32_e32 v150, 0x3f65296c, v48
	v_mul_f32_e32 v160, 0x3f65296c, v49
	v_dual_add_f32 v44, v44, v1 :: v_dual_mul_f32 v131, 0xbf06c442, v50
	v_fmamk_f32 v126, v57, 0xbf59a7d5, v141
	s_delay_alu instid0(VALU_DEP_4) | instskip(SKIP_1) | instid1(VALU_DEP_4)
	v_fma_f32 v129, 0x3ee437d1, v54, -v150
	v_mul_f32_e32 v156, 0xbe3c28d5, v157
	v_add_f32_e32 v44, v122, v44
	v_fma_f32 v122, 0xbf59a7d5, v56, -v131
	v_mul_f32_e32 v170, 0xbeb8f4ab, v51
	v_mul_f32_e32 v172, 0x3f7ee86f, v144
	v_fmamk_f32 v162, v64, 0xbf7ba420, v156
	v_add_f32_e32 v44, v126, v44
	v_fma_f32 v126, 0x3f3d2fb0, v58, -v123
	v_dual_add_f32 v45, v122, v45 :: v_dual_mul_f32 v128, 0xbf4c4adb, v140
	v_fmac_f32_e32 v138, 0xbf7ba420, v52
	v_fmac_f32_e32 v130, 0x3f6eb680, v54
	v_mul_f32_e32 v135, 0x3f65296c, v153
	s_delay_alu instid0(VALU_DEP_4)
	v_add_f32_e32 v45, v126, v45
	v_fmamk_f32 v122, v62, 0xbf1a4643, v147
	v_fmamk_f32 v125, v59, 0x3f3d2fb0, v142
	v_mul_f32_e32 v126, 0xbf763a35, v173
	v_mul_f32_e32 v132, 0x3f7ee86f, v186
	;; [unrolled: 1-line block ×3, first 2 shown]
	s_delay_alu instid0(VALU_DEP_4)
	v_dual_fmamk_f32 v127, v55, 0x3ee437d1, v160 :: v_dual_add_f32 v44, v125, v44
	v_fma_f32 v125, 0xbf1a4643, v61, -v128
	v_fmac_f32_e32 v128, 0xbf1a4643, v61
	v_add_f32_e32 v3, v3, v1
	v_fmac_f32_e32 v131, 0xbf59a7d5, v56
	v_fmac_f32_e32 v123, 0x3f3d2fb0, v58
	v_add_f32_e32 v45, v125, v45
	v_fma_f32 v125, 0x3ee437d1, v63, -v135
	v_mul_f32_e32 v134, 0x3f7ee86f, v187
	v_dual_add_f32 v44, v122, v44 :: v_dual_add_f32 v3, v21, v3
	v_fmac_f32_e32 v135, 0x3ee437d1, v63
	s_delay_alu instid0(VALU_DEP_4) | instskip(SKIP_1) | instid1(VALU_DEP_4)
	v_add_f32_e32 v45, v125, v45
	v_fma_f32 v125, 0xbe8c1d8e, v66, -v126
	v_dual_fmac_f32 v126, 0xbe8c1d8e, v66 :: v_dual_add_f32 v3, v23, v3
	s_delay_alu instid0(VALU_DEP_2) | instskip(SKIP_4) | instid1(VALU_DEP_3)
	v_add_f32_e32 v159, v125, v45
	v_fma_f32 v125, 0xbf59a7d5, v52, -v149
	v_mul_f32_e32 v148, 0x3f65296c, v157
	v_mul_f32_e32 v157, 0xbf2c7751, v157
	v_add_f32_e32 v3, v41, v3
	v_dual_add_f32 v125, v125, v0 :: v_dual_fmamk_f32 v122, v64, 0x3ee437d1, v148
	s_delay_alu instid0(VALU_DEP_2) | instskip(NEXT) | instid1(VALU_DEP_2)
	v_add_f32_e32 v3, v43, v3
	v_add_f32_e32 v125, v129, v125
	v_fma_f32 v129, 0x3dbcf732, v56, -v146
	s_delay_alu instid0(VALU_DEP_4) | instskip(NEXT) | instid1(VALU_DEP_4)
	v_add_f32_e32 v44, v122, v44
	v_dual_fmamk_f32 v122, v67, 0xbe8c1d8e, v145 :: v_dual_add_f32 v3, v37, v3
	s_delay_alu instid0(VALU_DEP_3) | instskip(SKIP_1) | instid1(VALU_DEP_3)
	v_dual_fmac_f32 v146, 0x3dbcf732, v56 :: v_dual_add_f32 v125, v129, v125
	v_mul_f32_e32 v129, 0xbeb8f4ab, v140
	v_add_f32_e32 v44, v122, v44
	s_delay_alu instid0(VALU_DEP_4) | instskip(NEXT) | instid1(VALU_DEP_4)
	v_dual_fmamk_f32 v122, v72, 0x3dbcf732, v134 :: v_dual_add_f32 v3, v39, v3
	v_add_f32_e32 v125, v133, v125
	s_delay_alu instid0(VALU_DEP_4) | instskip(NEXT) | instid1(VALU_DEP_3)
	v_fma_f32 v133, 0x3f6eb680, v61, -v129
	v_dual_mul_f32 v154, 0x3f4c4adb, v119 :: v_dual_add_f32 v45, v122, v44
	v_fma_f32 v122, 0x3dbcf732, v71, -v132
	v_mul_f32_e32 v155, 0xbeb8f4ab, v144
	s_delay_alu instid0(VALU_DEP_4)
	v_add_f32_e32 v165, v133, v125
	v_fmamk_f32 v44, v53, 0xbf59a7d5, v151
	v_mul_f32_e32 v133, 0xbf763a35, v187
	v_mul_f32_e32 v144, 0x3f7ee86f, v140
	v_fmamk_f32 v143, v62, 0x3f6eb680, v155
	v_mul_f32_e32 v140, 0xbe3c28d5, v178
	v_dual_add_f32 v44, v44, v1 :: v_dual_add_f32 v3, v17, v3
	v_fmac_f32_e32 v132, 0x3dbcf732, v71
	v_fmac_f32_e32 v150, 0x3ee437d1, v54
	s_delay_alu instid0(VALU_DEP_3) | instskip(NEXT) | instid1(VALU_DEP_4)
	v_dual_add_f32 v44, v127, v44 :: v_dual_fmamk_f32 v127, v57, 0x3dbcf732, v161
	v_add_f32_e32 v3, v19, v3
	v_fmac_f32_e32 v149, 0xbf59a7d5, v52
	s_delay_alu instid0(VALU_DEP_3) | instskip(SKIP_1) | instid1(VALU_DEP_1)
	v_add_f32_e32 v44, v127, v44
	v_fmamk_f32 v127, v59, 0xbf1a4643, v154
	v_dual_add_f32 v13, v13, v3 :: v_dual_add_f32 v44, v127, v44
	v_mul_f32_e32 v127, 0xbe3c28d5, v153
	s_delay_alu instid0(VALU_DEP_2) | instskip(SKIP_1) | instid1(VALU_DEP_4)
	v_add_f32_e32 v13, v15, v13
	v_fma_f32 v15, 0xbf7ba420, v53, -v139
	v_dual_add_f32 v44, v143, v44 :: v_dual_mul_f32 v143, 0x3f2c7751, v178
	s_delay_alu instid0(VALU_DEP_4) | instskip(NEXT) | instid1(VALU_DEP_4)
	v_fma_f32 v166, 0xbf7ba420, v63, -v127
	v_dual_mul_f32 v178, 0xbf59a7d5, v55 :: v_dual_add_f32 v9, v9, v13
	s_delay_alu instid0(VALU_DEP_3) | instskip(SKIP_3) | instid1(VALU_DEP_4)
	v_dual_add_f32 v162, v162, v44 :: v_dual_fmamk_f32 v167, v67, 0x3f3d2fb0, v143
	v_add_f32_e32 v44, v122, v159
	v_mul_f32_e32 v159, 0xbf4c4adb, v47
	v_dual_add_f32 v165, v166, v165 :: v_dual_mul_f32 v122, 0xbf763a35, v186
	v_add_f32_e32 v167, v167, v162
	v_mul_f32_e32 v162, 0xbf4c4adb, v46
	s_delay_alu instid0(VALU_DEP_4)
	v_fmamk_f32 v46, v53, 0xbf1a4643, v159
	v_fmamk_f32 v168, v72, 0xbe8c1d8e, v133
	v_add_f32_e32 v178, v203, v178
	v_add_f32_e32 v13, v15, v1
	v_fma_f32 v15, 0x3f6eb680, v55, -v137
	v_add_f32_e32 v46, v46, v1
	v_mul_f32_e32 v125, 0x3f2c7751, v173
	v_dual_add_f32 v47, v168, v167 :: v_dual_mul_f32 v168, 0x3f763a35, v49
	v_fma_f32 v49, 0xbe8c1d8e, v71, -v122
	v_add_f32_e32 v9, v11, v9
	s_delay_alu instid0(VALU_DEP_4)
	v_fma_f32 v166, 0x3f3d2fb0, v66, -v125
	v_fmac_f32_e32 v136, 0xbf1a4643, v58
	v_fmac_f32_e32 v122, 0xbe8c1d8e, v71
	;; [unrolled: 1-line block ×3, first 2 shown]
	v_add_f32_e32 v5, v5, v9
	v_dual_add_f32 v204, v166, v165 :: v_dual_mul_f32 v165, 0x3f763a35, v48
	v_fma_f32 v166, 0xbf1a4643, v52, -v162
	v_dual_fmamk_f32 v48, v55, 0xbe8c1d8e, v168 :: v_dual_add_f32 v9, v138, v0
	s_delay_alu instid0(VALU_DEP_4) | instskip(NEXT) | instid1(VALU_DEP_4)
	v_add_f32_e32 v5, v7, v5
	v_fma_f32 v167, 0xbe8c1d8e, v54, -v165
	s_delay_alu instid0(VALU_DEP_4) | instskip(NEXT) | instid1(VALU_DEP_4)
	v_dual_add_f32 v51, v166, v0 :: v_dual_mul_f32 v166, 0xbeb8f4ab, v50
	v_add_f32_e32 v46, v48, v46
	v_fmamk_f32 v48, v57, 0x3f6eb680, v170
	v_mul_f32_e32 v171, 0xbf06c442, v119
	s_delay_alu instid0(VALU_DEP_4) | instskip(SKIP_1) | instid1(VALU_DEP_4)
	v_dual_add_f32 v50, v167, v51 :: v_dual_mul_f32 v167, 0xbf06c442, v117
	v_fma_f32 v51, 0x3f6eb680, v56, -v166
	v_add_f32_e32 v46, v48, v46
	s_delay_alu instid0(VALU_DEP_4) | instskip(SKIP_1) | instid1(VALU_DEP_4)
	v_fmamk_f32 v48, v59, 0xbf59a7d5, v171
	v_mul_f32_e32 v117, 0xbf2c7751, v153
	v_dual_mul_f32 v119, 0xbe3c28d5, v173 :: v_dual_add_f32 v50, v51, v50
	v_fma_f32 v51, 0xbf59a7d5, v58, -v167
	s_delay_alu instid0(VALU_DEP_4) | instskip(SKIP_2) | instid1(VALU_DEP_4)
	v_add_f32_e32 v46, v48, v46
	v_fmamk_f32 v48, v62, 0x3dbcf732, v172
	v_fmamk_f32 v153, v67, 0xbf7ba420, v140
	v_dual_mul_f32 v173, 0x3f65296c, v187 :: v_dual_add_f32 v50, v51, v50
	v_fma_f32 v51, 0x3dbcf732, v61, -v144
	s_delay_alu instid0(VALU_DEP_4) | instskip(SKIP_2) | instid1(VALU_DEP_4)
	v_add_f32_e32 v46, v48, v46
	v_fmamk_f32 v48, v64, 0x3f3d2fb0, v157
	v_dual_add_f32 v2, v2, v0 :: v_dual_add_f32 v5, v27, v5
	v_add_f32_e32 v50, v51, v50
	v_fma_f32 v51, 0x3f3d2fb0, v63, -v117
	s_delay_alu instid0(VALU_DEP_4) | instskip(SKIP_2) | instid1(VALU_DEP_4)
	v_add_f32_e32 v48, v48, v46
	v_dual_add_f32 v46, v49, v204 :: v_dual_fmac_f32 v165, 0xbe8c1d8e, v54
	v_fmac_f32_e32 v129, 0x3f6eb680, v61
	v_add_f32_e32 v49, v51, v50
	v_fma_f32 v50, 0xbf7ba420, v66, -v119
	v_mul_f32_e32 v51, 0xbe8c1d8e, v53
	v_fmac_f32_e32 v119, 0xbf7ba420, v66
	v_add_f32_e32 v2, v20, v2
	v_fmac_f32_e32 v162, 0xbf1a4643, v52
	v_add_f32_e32 v50, v50, v49
	v_add_f32_e32 v49, v202, v51
	v_fmamk_f32 v51, v72, 0x3ee437d1, v173
	v_mul_f32_e32 v202, 0x3f3d2fb0, v57
	v_add_f32_e32 v2, v22, v2
	v_fmac_f32_e32 v125, 0x3f3d2fb0, v66
	v_add_f32_e32 v187, v49, v1
	v_fmac_f32_e32 v167, 0xbf59a7d5, v58
	s_delay_alu instid0(VALU_DEP_4) | instskip(NEXT) | instid1(VALU_DEP_3)
	v_dual_fmac_f32 v117, 0x3f3d2fb0, v63 :: v_dual_add_f32 v2, v40, v2
	v_add_f32_e32 v178, v178, v187
	v_dual_mul_f32 v187, 0x3ee437d1, v59 :: v_dual_add_f32 v48, v153, v48
	v_mul_f32_e32 v153, 0x3f65296c, v186
	v_mul_f32_e32 v186, 0xbe8c1d8e, v52
	s_delay_alu instid0(VALU_DEP_3) | instskip(NEXT) | instid1(VALU_DEP_2)
	v_dual_add_f32 v2, v42, v2 :: v_dual_add_f32 v49, v51, v48
	v_dual_mul_f32 v48, 0xbf59a7d5, v54 :: v_dual_sub_f32 v51, v186, v189
	v_dual_add_f32 v186, v201, v202 :: v_dual_mul_f32 v189, 0x3f3d2fb0, v56
	s_delay_alu instid0(VALU_DEP_3) | instskip(NEXT) | instid1(VALU_DEP_3)
	v_add_f32_e32 v2, v36, v2
	v_dual_sub_f32 v48, v48, v190 :: v_dual_add_f32 v51, v51, v0
	v_fma_f32 v190, 0x3ee437d1, v71, -v153
	v_fmac_f32_e32 v166, 0x3f6eb680, v56
	s_delay_alu instid0(VALU_DEP_4) | instskip(NEXT) | instid1(VALU_DEP_4)
	v_dual_add_f32 v2, v38, v2 :: v_dual_fmac_f32 v153, 0x3ee437d1, v71
	v_dual_add_f32 v48, v48, v51 :: v_dual_sub_f32 v51, v189, v197
	v_mul_f32_e32 v189, 0x3ee437d1, v58
	v_add_f32_e32 v178, v186, v178
	v_dual_add_f32 v186, v200, v187 :: v_dual_mul_f32 v187, 0xbf7ba420, v62
	v_add_f32_e32 v2, v16, v2
	s_delay_alu instid0(VALU_DEP_2) | instskip(NEXT) | instid1(VALU_DEP_3)
	v_add_f32_e32 v178, v186, v178
	v_dual_add_f32 v186, v199, v187 :: v_dual_mul_f32 v187, 0x3dbcf732, v64
	s_delay_alu instid0(VALU_DEP_3) | instskip(NEXT) | instid1(VALU_DEP_2)
	v_add_f32_e32 v2, v18, v2
	v_add_f32_e32 v178, v186, v178
	s_delay_alu instid0(VALU_DEP_3) | instskip(NEXT) | instid1(VALU_DEP_3)
	v_add_f32_e32 v186, v198, v187
	v_add_f32_e32 v12, v12, v2
	s_delay_alu instid0(VALU_DEP_2) | instskip(NEXT) | instid1(VALU_DEP_2)
	v_add_f32_e32 v178, v186, v178
	v_dual_mul_f32 v186, 0x3f6eb680, v67 :: v_dual_add_f32 v11, v14, v12
	v_add_f32_e32 v12, v15, v13
	v_fma_f32 v13, 0xbf59a7d5, v57, -v141
	s_delay_alu instid0(VALU_DEP_3) | instskip(NEXT) | instid1(VALU_DEP_2)
	v_add_f32_e32 v186, v196, v186
	v_dual_add_f32 v8, v8, v11 :: v_dual_add_f32 v11, v13, v12
	v_fma_f32 v12, 0x3f3d2fb0, v59, -v142
	s_delay_alu instid0(VALU_DEP_3) | instskip(NEXT) | instid1(VALU_DEP_3)
	v_add_f32_e32 v178, v186, v178
	v_dual_mul_f32 v186, 0xbe8c1d8e, v57 :: v_dual_add_f32 v7, v10, v8
	s_delay_alu instid0(VALU_DEP_3) | instskip(SKIP_1) | instid1(VALU_DEP_3)
	v_dual_add_f32 v8, v130, v9 :: v_dual_add_f32 v9, v12, v11
	v_fma_f32 v10, 0xbf1a4643, v62, -v147
	v_add_f32_e32 v183, v183, v186
	v_dual_add_f32 v48, v51, v48 :: v_dual_sub_f32 v51, v189, v195
	v_dual_mul_f32 v189, 0xbf7ba420, v61 :: v_dual_add_f32 v4, v4, v7
	s_delay_alu instid0(VALU_DEP_4) | instskip(NEXT) | instid1(VALU_DEP_3)
	v_dual_add_f32 v7, v131, v8 :: v_dual_add_f32 v8, v10, v9
	v_add_f32_e32 v51, v51, v48
	s_delay_alu instid0(VALU_DEP_3) | instskip(SKIP_3) | instid1(VALU_DEP_4)
	v_dual_sub_f32 v187, v189, v193 :: v_dual_add_f32 v48, v190, v50
	v_mul_f32_e32 v50, 0x3dbcf732, v63
	v_mul_f32_e32 v189, 0x3f6eb680, v66
	;; [unrolled: 1-line block ×3, first 2 shown]
	v_add_f32_e32 v51, v187, v51
	v_mul_f32_e32 v187, 0x3dbcf732, v53
	v_fma_f32 v9, 0x3ee437d1, v64, -v148
	s_delay_alu instid0(VALU_DEP_4) | instskip(SKIP_1) | instid1(VALU_DEP_4)
	v_dual_add_f32 v4, v6, v4 :: v_dual_add_f32 v185, v185, v190
	v_fma_f32 v6, 0xbf59a7d5, v53, -v151
	v_dual_add_f32 v184, v184, v187 :: v_dual_mul_f32 v187, 0xbf1a4643, v72
	s_delay_alu instid0(VALU_DEP_4) | instskip(SKIP_1) | instid1(VALU_DEP_4)
	v_add_f32_e32 v8, v9, v8
	v_fma_f32 v9, 0xbe8c1d8e, v67, -v145
	v_add_f32_e32 v6, v6, v1
	s_delay_alu instid0(VALU_DEP_4) | instskip(SKIP_4) | instid1(VALU_DEP_4)
	v_dual_add_f32 v184, v184, v1 :: v_dual_add_f32 v187, v194, v187
	v_sub_f32_e32 v50, v50, v191
	v_fma_f32 v10, 0x3ee437d1, v55, -v160
	v_dual_add_f32 v7, v123, v7 :: v_dual_add_f32 v8, v9, v8
	v_fma_f32 v9, 0x3dbcf732, v57, -v161
	v_dual_add_f32 v50, v50, v51 :: v_dual_sub_f32 v51, v189, v192
	v_mul_f32_e32 v189, 0xbf7ba420, v54
	s_delay_alu instid0(VALU_DEP_4) | instskip(SKIP_1) | instid1(VALU_DEP_4)
	v_dual_add_f32 v6, v10, v6 :: v_dual_add_f32 v7, v128, v7
	v_fma_f32 v10, 0x3dbcf732, v72, -v134
	v_dual_add_f32 v50, v51, v50 :: v_dual_add_f32 v51, v185, v184
	v_mul_f32_e32 v184, 0x3dbcf732, v52
	v_dual_mul_f32 v185, 0x3f6eb680, v59 :: v_dual_sub_f32 v174, v189, v174
	s_delay_alu instid0(VALU_DEP_3) | instskip(NEXT) | instid1(VALU_DEP_3)
	v_dual_add_f32 v6, v9, v6 :: v_dual_add_f32 v51, v183, v51
	v_sub_f32_e32 v169, v184, v169
	s_delay_alu instid0(VALU_DEP_3) | instskip(SKIP_2) | instid1(VALU_DEP_4)
	v_dual_add_f32 v180, v180, v185 :: v_dual_mul_f32 v183, 0x3ee437d1, v62
	v_mul_f32_e32 v185, 0xbe8c1d8e, v56
	v_fma_f32 v9, 0xbf1a4643, v59, -v154
	v_add_f32_e32 v169, v169, v0
	v_add_f32_e32 v7, v135, v7
	;; [unrolled: 1-line block ×3, first 2 shown]
	v_sub_f32_e32 v175, v185, v175
	v_mul_f32_e32 v183, 0x3f6eb680, v58
	v_add_f32_e32 v169, v174, v169
	v_add_f32_e32 v9, v9, v6
	v_fma_f32 v13, 0x3f6eb680, v62, -v155
	v_add_f32_e32 v11, v126, v7
	v_add_f32_e32 v7, v10, v8
	;; [unrolled: 1-line block ×3, first 2 shown]
	v_dual_sub_f32 v175, v183, v176 :: v_dual_mul_f32 v176, 0x3ee437d1, v53
	v_add_f32_e32 v9, v13, v9
	v_fma_f32 v10, 0xbf7ba420, v64, -v156
	s_delay_alu instid0(VALU_DEP_3) | instskip(NEXT) | instid1(VALU_DEP_4)
	v_dual_add_f32 v6, v132, v11 :: v_dual_add_f32 v169, v175, v169
	v_dual_mul_f32 v175, 0xbf1a4643, v55 :: v_dual_add_f32 v120, v120, v176
	v_mul_f32_e32 v176, 0xbf1a4643, v67
	v_mul_f32_e32 v186, 0xbf1a4643, v71
	v_fma_f32 v11, 0xbf1a4643, v53, -v159
	s_delay_alu instid0(VALU_DEP_4) | instskip(NEXT) | instid1(VALU_DEP_4)
	v_dual_add_f32 v121, v121, v175 :: v_dual_add_f32 v120, v120, v1
	v_dual_add_f32 v175, v177, v176 :: v_dual_mul_f32 v176, 0xbf7ba420, v57
	v_add_f32_e32 v9, v10, v9
	v_fma_f32 v10, 0xbe8c1d8e, v55, -v168
	s_delay_alu instid0(VALU_DEP_4) | instskip(SKIP_4) | instid1(VALU_DEP_4)
	v_add_f32_e32 v120, v121, v120
	v_mul_f32_e32 v121, 0x3ee437d1, v52
	v_add_f32_e32 v118, v118, v176
	v_dual_add_f32 v180, v180, v51 :: v_dual_add_f32 v51, v187, v178
	v_add_f32_e32 v12, v149, v0
	v_sub_f32_e32 v90, v121, v90
	s_delay_alu instid0(VALU_DEP_4) | instskip(SKIP_2) | instid1(VALU_DEP_4)
	v_add_f32_e32 v118, v118, v120
	v_mul_f32_e32 v120, 0xbe8c1d8e, v59
	v_dual_mul_f32 v121, 0xbf1a4643, v66 :: v_dual_add_f32 v178, v181, v180
	v_add_f32_e32 v90, v90, v0
	v_add_f32_e32 v8, v150, v12
	s_delay_alu instid0(VALU_DEP_4) | instskip(SKIP_3) | instid1(VALU_DEP_4)
	v_add_f32_e32 v115, v115, v120
	v_mul_f32_e32 v174, 0xbf59a7d5, v64
	v_dual_sub_f32 v120, v121, v152 :: v_dual_mul_f32 v121, 0x3f3d2fb0, v62
	v_fma_f32 v12, 0xbf7ba420, v67, -v140
	v_add_f32_e32 v115, v115, v118
	s_delay_alu instid0(VALU_DEP_4)
	v_add_f32_e32 v174, v182, v174
	v_mul_f32_e32 v118, 0x3f3d2fb0, v72
	v_add_f32_e32 v114, v114, v121
	v_fma_f32 v13, 0x3ee437d1, v72, -v173
	v_add_f32_e32 v8, v146, v8
	v_add_f32_e32 v174, v174, v178
	v_mul_f32_e32 v178, 0x3ee437d1, v61
	v_fmac_f32_e32 v144, 0x3dbcf732, v61
	v_add_f32_e32 v4, v26, v4
	s_delay_alu instid0(VALU_DEP_3) | instskip(SKIP_1) | instid1(VALU_DEP_2)
	v_dual_add_f32 v8, v136, v8 :: v_dual_sub_f32 v163, v178, v163
	v_mul_f32_e32 v178, 0xbf59a7d5, v63
	v_dual_add_f32 v8, v129, v8 :: v_dual_add_f32 v163, v163, v169
	s_delay_alu instid0(VALU_DEP_2) | instskip(NEXT) | instid1(VALU_DEP_1)
	v_sub_f32_e32 v164, v178, v164
	v_dual_add_f32 v8, v127, v8 :: v_dual_add_f32 v163, v164, v163
	v_mul_f32_e32 v164, 0xbf1a4643, v54
	s_delay_alu instid0(VALU_DEP_2) | instskip(NEXT) | instid1(VALU_DEP_2)
	v_add_f32_e32 v8, v125, v8
	v_sub_f32_e32 v96, v164, v96
	v_mul_f32_e32 v164, 0xbf7ba420, v56
	s_delay_alu instid0(VALU_DEP_2) | instskip(NEXT) | instid1(VALU_DEP_2)
	v_add_f32_e32 v90, v96, v90
	v_sub_f32_e32 v96, v164, v100
	;; [unrolled: 4-line block ×3, first 2 shown]
	v_dual_mul_f32 v100, 0x3f3d2fb0, v61 :: v_dual_add_f32 v105, v179, v118
	v_add_f32_e32 v118, v120, v163
	v_mul_f32_e32 v120, 0x3f6eb680, v64
	s_delay_alu instid0(VALU_DEP_4) | instskip(NEXT) | instid1(VALU_DEP_4)
	v_add_f32_e32 v90, v96, v90
	v_sub_f32_e32 v96, v100, v108
	v_mul_f32_e32 v108, 0x3f6eb680, v63
	s_delay_alu instid0(VALU_DEP_4) | instskip(NEXT) | instid1(VALU_DEP_3)
	v_dual_add_f32 v100, v114, v115 :: v_dual_add_f32 v113, v113, v120
	v_dual_mul_f32 v115, 0x3f6eb680, v53 :: v_dual_add_f32 v90, v96, v90
	v_mul_f32_e32 v96, 0x3dbcf732, v67
	s_delay_alu instid0(VALU_DEP_4) | instskip(NEXT) | instid1(VALU_DEP_4)
	v_sub_f32_e32 v108, v108, v110
	v_add_f32_e32 v100, v113, v100
	v_dual_sub_f32 v184, v186, v188 :: v_dual_add_f32 v169, v175, v174
	s_delay_alu instid0(VALU_DEP_4) | instskip(NEXT) | instid1(VALU_DEP_4)
	v_add_f32_e32 v96, v116, v96
	v_add_f32_e32 v90, v108, v90
	v_mul_f32_e32 v108, 0xbf59a7d5, v72
	v_mul_f32_e32 v116, 0x3f3d2fb0, v52
	;; [unrolled: 1-line block ×3, first 2 shown]
	v_add_f32_e32 v96, v96, v100
	v_mul_f32_e32 v100, 0xbf59a7d5, v71
	v_add_f32_e32 v108, v124, v108
	s_delay_alu instid0(VALU_DEP_4) | instskip(NEXT) | instid1(VALU_DEP_3)
	v_dual_sub_f32 v75, v116, v75 :: v_dual_add_f32 v78, v78, v120
	v_dual_add_f32 v69, v69, v115 :: v_dual_sub_f32 v100, v100, v112
	s_delay_alu instid0(VALU_DEP_3) | instskip(SKIP_3) | instid1(VALU_DEP_4)
	v_dual_add_f32 v113, v108, v96 :: v_dual_mul_f32 v96, 0x3dbcf732, v55
	v_mul_f32_e32 v108, 0x3ee437d1, v57
	v_mul_f32_e32 v114, 0x3f3d2fb0, v71
	v_dual_add_f32 v78, v78, v1 :: v_dual_add_f32 v75, v75, v0
	v_dual_add_f32 v81, v81, v96 :: v_dual_mul_f32 v96, 0xbf1a4643, v57
	s_delay_alu instid0(VALU_DEP_1) | instskip(NEXT) | instid1(VALU_DEP_2)
	v_dual_add_f32 v23, v74, v108 :: v_dual_add_f32 v78, v81, v78
	v_add_f32_e32 v86, v86, v96
	v_mul_f32_e32 v96, 0x3dbcf732, v59
	v_sub_f32_e32 v110, v114, v158
	v_mul_f32_e32 v114, 0x3dbcf732, v66
	v_add_f32_e32 v50, v184, v50
	v_add_f32_e32 v78, v86, v78
	v_mul_f32_e32 v86, 0xbe8c1d8e, v61
	v_mul_f32_e32 v81, 0x3dbcf732, v58
	v_dual_sub_f32 v111, v114, v111 :: v_dual_mul_f32 v114, 0x3f6eb680, v52
	v_add_f32_e32 v110, v110, v118
	s_delay_alu instid0(VALU_DEP_2) | instskip(SKIP_1) | instid1(VALU_DEP_2)
	v_dual_add_f32 v90, v111, v90 :: v_dual_add_f32 v111, v105, v169
	v_mul_f32_e32 v105, 0x3f3d2fb0, v54
	v_dual_sub_f32 v21, v114, v65 :: v_dual_add_f32 v112, v100, v90
	v_mul_f32_e32 v90, 0x3dbcf732, v54
	v_mul_f32_e32 v100, 0x3ee437d1, v56
	s_delay_alu instid0(VALU_DEP_3) | instskip(SKIP_1) | instid1(VALU_DEP_4)
	v_add_f32_e32 v21, v21, v0
	v_add_f32_e32 v0, v162, v0
	v_dual_sub_f32 v79, v90, v79 :: v_dual_mul_f32 v90, 0xbf1a4643, v56
	s_delay_alu instid0(VALU_DEP_4) | instskip(NEXT) | instid1(VALU_DEP_2)
	v_sub_f32_e32 v22, v100, v73
	v_dual_add_f32 v0, v165, v0 :: v_dual_add_f32 v75, v79, v75
	s_delay_alu instid0(VALU_DEP_3) | instskip(SKIP_1) | instid1(VALU_DEP_2)
	v_sub_f32_e32 v84, v90, v84
	v_dual_mul_f32 v90, 0xbf7ba420, v58 :: v_dual_mul_f32 v79, 0xbf7ba420, v59
	v_dual_add_f32 v0, v166, v0 :: v_dual_add_f32 v75, v84, v75
	s_delay_alu instid0(VALU_DEP_2) | instskip(SKIP_3) | instid1(VALU_DEP_4)
	v_dual_sub_f32 v88, v90, v88 :: v_dual_add_f32 v79, v91, v79
	v_mul_f32_e32 v84, 0xbf59a7d5, v62
	v_mul_f32_e32 v90, 0xbf59a7d5, v61
	;; [unrolled: 1-line block ×3, first 2 shown]
	v_dual_add_f32 v75, v88, v75 :: v_dual_add_f32 v78, v79, v78
	s_delay_alu instid0(VALU_DEP_4) | instskip(SKIP_2) | instid1(VALU_DEP_3)
	v_add_f32_e32 v84, v95, v84
	v_mul_f32_e32 v88, 0xbe8c1d8e, v64
	v_dual_sub_f32 v90, v90, v93 :: v_dual_mul_f32 v93, 0xbe8c1d8e, v63
	v_dual_mul_f32 v79, 0xbf1a4643, v63 :: v_dual_add_f32 v78, v84, v78
	s_delay_alu instid0(VALU_DEP_3) | instskip(NEXT) | instid1(VALU_DEP_3)
	v_add_f32_e32 v88, v99, v88
	v_dual_mul_f32 v84, 0xbf59a7d5, v66 :: v_dual_add_f32 v75, v90, v75
	s_delay_alu instid0(VALU_DEP_4) | instskip(SKIP_1) | instid1(VALU_DEP_4)
	v_dual_mul_f32 v90, 0x3ee437d1, v67 :: v_dual_sub_f32 v93, v93, v98
	v_mul_f32_e32 v98, 0x3ee437d1, v66
	v_add_f32_e32 v78, v88, v78
	v_mul_f32_e32 v118, 0x3f3d2fb0, v55
	s_delay_alu instid0(VALU_DEP_4) | instskip(NEXT) | instid1(VALU_DEP_4)
	v_dual_add_f32 v90, v106, v90 :: v_dual_add_f32 v75, v93, v75
	v_sub_f32_e32 v98, v98, v104
	v_mul_f32_e32 v93, 0x3f6eb680, v72
	v_sub_f32_e32 v19, v79, v85
	v_mul_f32_e32 v95, 0xbf1a4643, v64
	v_mul_f32_e32 v99, 0xbf59a7d5, v67
	v_dual_add_f32 v75, v98, v75 :: v_dual_add_f32 v98, v69, v1
	v_dual_add_f32 v1, v11, v1 :: v_dual_mul_f32 v88, 0xbf7ba420, v71
	v_fma_f32 v11, 0x3f3d2fb0, v67, -v143
	v_mul_f32_e32 v104, 0x3f6eb680, v71
	v_add_f32_e32 v78, v90, v78
	s_delay_alu instid0(VALU_DEP_4)
	v_add_f32_e32 v1, v10, v1
	v_fma_f32 v10, 0x3f6eb680, v57, -v170
	v_mul_f32_e32 v106, 0xbf7ba420, v72
	v_add_f32_e32 v90, v109, v93
	v_add_f32_e32 v9, v11, v9
	v_sub_f32_e32 v93, v104, v107
	v_add_f32_e32 v1, v10, v1
	v_fma_f32 v10, 0xbf59a7d5, v59, -v171
	v_sub_f32_e32 v68, v105, v68
	v_fma_f32 v11, 0xbe8c1d8e, v72, -v133
	v_dual_add_f32 v0, v167, v0 :: v_dual_add_f32 v69, v93, v75
	s_delay_alu instid0(VALU_DEP_4) | instskip(NEXT) | instid1(VALU_DEP_4)
	v_add_f32_e32 v1, v10, v1
	v_add_f32_e32 v21, v68, v21
	v_fma_f32 v10, 0x3dbcf732, v62, -v172
	s_delay_alu instid0(VALU_DEP_2) | instskip(NEXT) | instid1(VALU_DEP_2)
	v_dual_add_f32 v0, v144, v0 :: v_dual_add_f32 v21, v22, v21
	v_dual_sub_f32 v22, v81, v76 :: v_dual_add_f32 v1, v10, v1
	v_fma_f32 v10, 0x3f3d2fb0, v64, -v157
	s_delay_alu instid0(VALU_DEP_2) | instskip(SKIP_1) | instid1(VALU_DEP_3)
	v_dual_add_f32 v0, v117, v0 :: v_dual_add_f32 v21, v22, v21
	v_sub_f32_e32 v22, v86, v80
	v_add_f32_e32 v1, v10, v1
	v_mul_lo_u16 v10, v102, 17
	s_delay_alu instid0(VALU_DEP_4)
	v_add_f32_e32 v14, v119, v0
	v_add_f32_e32 v0, v122, v8
	;; [unrolled: 1-line block ×4, first 2 shown]
	v_dual_add_f32 v1, v11, v9 :: v_dual_and_b32 v10, 0xffff, v10
	v_add_f32_e32 v8, v153, v14
	s_delay_alu instid0(VALU_DEP_4) | instskip(SKIP_3) | instid1(VALU_DEP_3)
	v_add_f32_e32 v16, v19, v21
	v_dual_sub_f32 v19, v84, v89 :: v_dual_add_f32 v104, v70, v118
	v_dual_add_f32 v9, v13, v12 :: v_dual_add_f32 v70, v90, v78
	v_add_lshl_u32 v10, v60, v10, 3
	v_dual_add_f32 v16, v19, v16 :: v_dual_add_f32 v65, v104, v98
	s_delay_alu instid0(VALU_DEP_1) | instskip(NEXT) | instid1(VALU_DEP_1)
	v_dual_add_f32 v20, v23, v65 :: v_dual_add_f32 v23, v77, v96
	v_add_f32_e32 v20, v23, v20
	v_add_f32_e32 v23, v83, v91
	s_delay_alu instid0(VALU_DEP_1) | instskip(SKIP_1) | instid1(VALU_DEP_1)
	v_add_f32_e32 v20, v23, v20
	v_add_f32_e32 v23, v87, v95
	v_dual_add_f32 v17, v23, v20 :: v_dual_add_f32 v20, v92, v99
	s_delay_alu instid0(VALU_DEP_1) | instskip(NEXT) | instid1(VALU_DEP_1)
	v_dual_add_f32 v17, v20, v17 :: v_dual_add_f32 v20, v97, v106
	v_add_f32_e32 v3, v20, v17
	v_sub_f32_e32 v17, v88, v94
	s_delay_alu instid0(VALU_DEP_1)
	v_add_f32_e32 v2, v17, v16
	ds_store_2addr_b64 v10, v[4:5], v[2:3] offset1:1
	ds_store_2addr_b64 v10, v[69:70], v[112:113] offset0:2 offset1:3
	ds_store_2addr_b64 v10, v[110:111], v[50:51] offset0:4 offset1:5
	;; [unrolled: 1-line block ×7, first 2 shown]
	ds_store_b64 v10, v[24:25] offset:128
.LBB0_7:
	s_wait_alu 0xfffe
	s_or_b32 exec_lo, exec_lo, s0
	v_add_lshl_u32 v104, v60, v102, 3
	global_wb scope:SCOPE_SE
	s_wait_dscnt 0x0
	s_barrier_signal -1
	s_barrier_wait -1
	global_inv scope:SCOPE_SE
	v_add_nc_u32_e32 v0, 0x400, v104
	v_add_nc_u32_e32 v1, 0xc00, v104
	;; [unrolled: 1-line block ×5, first 2 shown]
	ds_load_2addr_b64 v[36:39], v104 offset1:102
	ds_load_2addr_b64 v[56:59], v0 offset0:93 offset1:195
	ds_load_2addr_b64 v[52:55], v1 offset0:58 offset1:160
	;; [unrolled: 1-line block ×5, first 2 shown]
	v_cmp_gt_u16_e64 s0, 17, v102
	s_delay_alu instid0(VALU_DEP_1)
	s_and_saveexec_b32 s1, s0
	s_cbranch_execz .LBB0_9
; %bb.8:
	v_add_nc_u32_e32 v0, 0x600, v104
	v_add_nc_u32_e32 v1, 0x1400, v104
	;; [unrolled: 1-line block ×3, first 2 shown]
	ds_load_2addr_b64 v[32:35], v0 offset0:12 offset1:233
	ds_load_2addr_b64 v[28:31], v1 offset0:6 offset1:227
	ds_load_2addr_b64 v[24:27], v2 offset1:221
.LBB0_9:
	s_wait_alu 0xfffe
	s_or_b32 exec_lo, exec_lo, s1
	v_and_b32_e32 v0, 0xff, v102
	v_add_nc_u16 v2, v102, 0x66
	s_delay_alu instid0(VALU_DEP_2) | instskip(NEXT) | instid1(VALU_DEP_2)
	v_mul_lo_u16 v0, 0xf1, v0
	v_and_b32_e32 v1, 0xff, v2
	s_delay_alu instid0(VALU_DEP_2) | instskip(NEXT) | instid1(VALU_DEP_2)
	v_lshrrev_b16 v63, 12, v0
	v_mul_lo_u16 v1, 0xf1, v1
	s_delay_alu instid0(VALU_DEP_2) | instskip(NEXT) | instid1(VALU_DEP_2)
	v_mul_lo_u16 v0, v63, 17
	v_lshrrev_b16 v65, 12, v1
	s_delay_alu instid0(VALU_DEP_2) | instskip(NEXT) | instid1(VALU_DEP_2)
	v_sub_nc_u16 v0, v102, v0
	v_mul_lo_u16 v5, v65, 17
	s_delay_alu instid0(VALU_DEP_2) | instskip(NEXT) | instid1(VALU_DEP_2)
	v_and_b32_e32 v64, 0xff, v0
	v_sub_nc_u16 v2, v2, v5
	s_delay_alu instid0(VALU_DEP_2)
	v_mad_co_u64_u32 v[0:1], null, v64, 40, s[2:3]
	s_clause 0x1
	global_load_b128 v[20:23], v[0:1], off
	global_load_b128 v[16:19], v[0:1], off offset:16
	v_add_nc_u32_e32 v3, 0xcc, v102
	v_and_b32_e32 v67, 0xff, v2
	global_load_b64 v[87:88], v[0:1], off offset:32
	v_and_b32_e32 v4, 0xffff, v3
	s_delay_alu instid0(VALU_DEP_1) | instskip(NEXT) | instid1(VALU_DEP_1)
	v_mul_u32_u24_e32 v4, 0xf0f1, v4
	v_lshrrev_b32_e32 v4, 20, v4
	s_delay_alu instid0(VALU_DEP_1) | instskip(NEXT) | instid1(VALU_DEP_1)
	v_mul_lo_u16 v4, v4, 17
	v_sub_nc_u16 v66, v3, v4
	s_delay_alu instid0(VALU_DEP_1) | instskip(SKIP_1) | instid1(VALU_DEP_2)
	v_mul_lo_u16 v2, v66, 40
	v_and_b32_e32 v106, 0xffff, v66
	v_and_b32_e32 v2, 0xffff, v2
	s_delay_alu instid0(VALU_DEP_1)
	v_add_co_u32 v61, s1, s2, v2
	s_wait_alu 0xf1ff
	v_add_co_ci_u32_e64 v62, null, s3, 0, s1
	s_wait_loadcnt_dscnt 0x102
	v_mul_f32_e32 v66, v48, v17
	v_mad_co_u64_u32 v[0:1], null, v67, 40, s[2:3]
	s_clause 0x5
	global_load_b128 v[12:15], v[0:1], off
	global_load_b128 v[8:11], v[0:1], off offset:16
	global_load_b64 v[85:86], v[0:1], off offset:32
	global_load_b128 v[4:7], v[61:62], off
	global_load_b128 v[0:3], v[61:62], off offset:16
	global_load_b64 v[83:84], v[61:62], off offset:32
	s_wait_loadcnt_dscnt 0x600
	v_dual_mul_f32 v70, v40, v88 :: v_dual_and_b32 v61, 0xffff, v63
	v_dual_mul_f32 v69, v41, v88 :: v_dual_and_b32 v62, 0xffff, v65
	v_mul_f32_e32 v63, v53, v23
	s_delay_alu instid0(VALU_DEP_3) | instskip(SKIP_1) | instid1(VALU_DEP_4)
	v_mul_u32_u24_e32 v61, 0x66, v61
	v_mul_f32_e32 v65, v49, v17
	v_mul_u32_u24_e32 v62, 0x66, v62
	v_mul_f32_e32 v68, v44, v19
	v_fmac_f32_e32 v70, v41, v87
	v_dual_mul_f32 v64, v52, v23 :: v_dual_add_nc_u32 v61, v61, v64
	s_delay_alu instid0(VALU_DEP_4) | instskip(SKIP_2) | instid1(VALU_DEP_4)
	v_add_nc_u32_e32 v62, v62, v67
	v_mul_f32_e32 v67, v45, v19
	v_fma_f32 v52, v52, v22, -v63
	v_add_lshl_u32 v108, v60, v61, 3
	v_mul_f32_e32 v61, v57, v21
	v_fmac_f32_e32 v64, v53, v22
	v_fma_f32 v48, v48, v16, -v65
	v_fmac_f32_e32 v66, v49, v16
	v_fma_f32 v44, v44, v18, -v67
	v_fmac_f32_e32 v68, v45, v18
	v_fma_f32 v40, v40, v87, -v69
	s_load_b128 s[4:7], s[4:5], 0x0
	global_wb scope:SCOPE_SE
	s_wait_loadcnt 0x0
	s_wait_kmcnt 0x0
	s_barrier_signal -1
	s_barrier_wait -1
	global_inv scope:SCOPE_SE
	v_mul_f32_e32 v67, v43, v86
	v_mul_f32_e32 v41, v59, v13
	v_add_lshl_u32 v107, v60, v62, 3
	v_mul_f32_e32 v62, v56, v21
	v_fma_f32 v56, v56, v20, -v61
	v_mul_f32_e32 v61, v50, v9
	v_mul_f32_e32 v53, v58, v13
	s_delay_alu instid0(VALU_DEP_4)
	v_dual_mul_f32 v45, v55, v15 :: v_dual_fmac_f32 v62, v57, v20
	v_mul_f32_e32 v49, v54, v15
	v_mul_f32_e32 v57, v51, v9
	v_dual_mul_f32 v63, v47, v11 :: v_dual_mul_f32 v72, v34, v5
	v_mul_f32_e32 v65, v46, v11
	v_dual_mul_f32 v69, v42, v86 :: v_dual_mul_f32 v74, v28, v7
	v_dual_mul_f32 v71, v35, v5 :: v_dual_mul_f32 v78, v24, v3
	;; [unrolled: 1-line block ×4, first 2 shown]
	v_mul_f32_e32 v77, v25, v3
	v_mul_f32_e32 v79, v27, v84
	v_fma_f32 v58, v58, v12, -v41
	v_dual_fmac_f32 v53, v59, v12 :: v_dual_fmac_f32 v74, v29, v6
	v_fma_f32 v41, v54, v14, -v45
	v_fmac_f32_e32 v49, v55, v14
	v_fma_f32 v45, v50, v8, -v57
	v_dual_fmac_f32 v61, v51, v8 :: v_dual_fmac_f32 v78, v25, v2
	v_fma_f32 v46, v46, v10, -v63
	v_fma_f32 v42, v42, v85, -v67
	v_dual_sub_f32 v50, v64, v68 :: v_dual_fmac_f32 v65, v47, v10
	v_add_f32_e32 v51, v37, v64
	v_add_f32_e32 v54, v64, v68
	;; [unrolled: 1-line block ×4, first 2 shown]
	v_dual_add_f32 v63, v62, v66 :: v_dual_fmac_f32 v76, v31, v0
	v_dual_add_f32 v64, v66, v70 :: v_dual_fmac_f32 v69, v43, v85
	;; [unrolled: 1-line block ×3, first 2 shown]
	v_sub_f32_e32 v52, v52, v44
	v_add_f32_e32 v55, v56, v48
	v_fma_f32 v28, v28, v6, -v73
	v_fma_f32 v29, v30, v0, -v75
	;; [unrolled: 1-line block ×4, first 2 shown]
	v_dual_sub_f32 v59, v66, v70 :: v_dual_fmac_f32 v72, v35, v4
	v_sub_f32_e32 v48, v48, v40
	v_fma_f32 v66, v34, v4, -v71
	v_dual_add_f32 v25, v43, v44 :: v_dual_add_f32 v44, v45, v42
	v_fmac_f32_e32 v56, -0.5, v57
	v_fma_f32 v47, -0.5, v47, v36
	v_fmac_f32_e32 v62, -0.5, v64
	v_dual_add_f32 v34, v38, v41 :: v_dual_add_f32 v27, v51, v68
	v_fma_f32 v51, -0.5, v54, v37
	v_add_f32_e32 v54, v53, v61
	v_add_f32_e32 v35, v41, v46
	v_sub_f32_e32 v36, v49, v65
	v_add_f32_e32 v30, v55, v40
	v_dual_add_f32 v37, v39, v49 :: v_dual_add_f32 v64, v33, v74
	v_add_f32_e32 v40, v49, v65
	v_add_f32_e32 v43, v58, v45
	v_sub_f32_e32 v49, v61, v69
	v_add_f32_e32 v55, v61, v69
	v_add_f32_e32 v61, v28, v24
	v_dual_add_f32 v67, v74, v78 :: v_dual_fmac_f32 v58, -0.5, v44
	v_add_f32_e32 v71, v29, v26
	v_add_f32_e32 v75, v76, v80
	v_dual_add_f32 v31, v63, v70 :: v_dual_sub_f32 v68, v28, v24
	v_dual_sub_f32 v41, v41, v46 :: v_dual_add_f32 v70, v66, v29
	v_sub_f32_e32 v45, v45, v42
	v_add_f32_e32 v57, v32, v28
	v_sub_f32_e32 v63, v74, v78
	v_sub_f32_e32 v73, v76, v80
	v_add_f32_e32 v74, v72, v76
	v_dual_sub_f32 v76, v29, v26 :: v_dual_fmamk_f32 v77, v50, 0x3f5db3d7, v47
	v_dual_fmac_f32 v47, 0xbf5db3d7, v50 :: v_dual_add_f32 v24, v57, v24
	v_fmamk_f32 v50, v52, 0xbf5db3d7, v51
	v_dual_add_f32 v28, v25, v30 :: v_dual_fmac_f32 v51, 0x3f5db3d7, v52
	v_fmac_f32_e32 v32, -0.5, v61
	v_fmamk_f32 v52, v59, 0x3f5db3d7, v56
	v_fmac_f32_e32 v56, 0xbf5db3d7, v59
	v_dual_fmamk_f32 v59, v48, 0xbf5db3d7, v62 :: v_dual_add_f32 v26, v70, v26
	v_fmac_f32_e32 v62, 0x3f5db3d7, v48
	v_dual_add_f32 v46, v34, v46 :: v_dual_fmac_f32 v39, -0.5, v40
	v_fmac_f32_e32 v72, -0.5, v75
	v_add_f32_e32 v40, v43, v42
	v_add_f32_e32 v42, v54, v69
	v_dual_add_f32 v37, v37, v65 :: v_dual_fmac_f32 v66, -0.5, v71
	v_fmac_f32_e32 v53, -0.5, v55
	s_delay_alu instid0(VALU_DEP_4)
	v_dual_fmac_f32 v33, -0.5, v67 :: v_dual_add_f32 v34, v46, v40
	v_dual_add_f32 v29, v27, v31 :: v_dual_mul_f32 v54, -0.5, v56
	v_sub_f32_e32 v30, v25, v30
	v_fma_f32 v38, -0.5, v35, v38
	v_sub_f32_e32 v31, v27, v31
	v_dual_add_f32 v25, v64, v78 :: v_dual_mul_f32 v44, 0x3f5db3d7, v59
	v_dual_add_f32 v27, v74, v80 :: v_dual_fmamk_f32 v64, v41, 0xbf5db3d7, v39
	v_mul_f32_e32 v55, 0xbf5db3d7, v52
	v_mul_f32_e32 v57, -0.5, v62
	v_fmac_f32_e32 v39, 0x3f5db3d7, v41
	v_dual_fmamk_f32 v65, v49, 0x3f5db3d7, v58 :: v_dual_sub_f32 v48, v24, v26
	v_dual_fmac_f32 v58, 0xbf5db3d7, v49 :: v_dual_fmamk_f32 v67, v45, 0xbf5db3d7, v53
	v_fmac_f32_e32 v53, 0x3f5db3d7, v45
	v_dual_add_f32 v35, v37, v42 :: v_dual_fmamk_f32 v70, v76, 0xbf5db3d7, v72
	v_fmamk_f32 v69, v63, 0x3f5db3d7, v32
	v_dual_fmac_f32 v32, 0xbf5db3d7, v63 :: v_dual_fmamk_f32 v63, v68, 0xbf5db3d7, v33
	v_dual_fmac_f32 v33, 0x3f5db3d7, v68 :: v_dual_fmac_f32 v54, 0x3f5db3d7, v62
	v_fmamk_f32 v68, v73, 0x3f5db3d7, v66
	v_fmac_f32_e32 v66, 0xbf5db3d7, v73
	v_fmac_f32_e32 v72, 0x3f5db3d7, v76
	v_fmamk_f32 v61, v36, 0x3f5db3d7, v38
	v_fmac_f32_e32 v38, 0xbf5db3d7, v36
	v_dual_sub_f32 v36, v46, v40 :: v_dual_sub_f32 v37, v37, v42
	v_dual_fmac_f32 v44, 0.5, v52 :: v_dual_sub_f32 v49, v25, v27
	v_dual_mul_f32 v74, 0x3f5db3d7, v70 :: v_dual_fmac_f32 v55, 0.5, v59
	v_mul_f32_e32 v78, -0.5, v72
	v_dual_fmac_f32 v57, 0xbf5db3d7, v56 :: v_dual_add_f32 v42, v47, v54
	v_mul_f32_e32 v52, 0x3f5db3d7, v67
	v_dual_mul_f32 v62, -0.5, v58 :: v_dual_mul_f32 v71, 0xbf5db3d7, v65
	v_dual_add_f32 v40, v77, v44 :: v_dual_mul_f32 v73, -0.5, v53
	v_dual_sub_f32 v44, v77, v44 :: v_dual_mul_f32 v75, -0.5, v66
	s_delay_alu instid0(VALU_DEP_4) | instskip(SKIP_4) | instid1(VALU_DEP_4)
	v_fmac_f32_e32 v52, 0.5, v65
	v_dual_mul_f32 v76, 0xbf5db3d7, v68 :: v_dual_add_f32 v41, v50, v55
	v_sub_f32_e32 v46, v47, v54
	v_dual_add_f32 v43, v51, v57 :: v_dual_fmac_f32 v74, 0.5, v68
	v_dual_sub_f32 v45, v50, v55 :: v_dual_fmac_f32 v62, 0x3f5db3d7, v53
	v_dual_sub_f32 v47, v51, v57 :: v_dual_fmac_f32 v76, 0.5, v70
	v_dual_fmac_f32 v71, 0.5, v67 :: v_dual_fmac_f32 v78, 0xbf5db3d7, v66
	v_dual_fmac_f32 v73, 0xbf5db3d7, v58 :: v_dual_add_f32 v56, v61, v52
	s_delay_alu instid0(VALU_DEP_4) | instskip(SKIP_1) | instid1(VALU_DEP_3)
	v_dual_fmac_f32 v75, 0x3f5db3d7, v72 :: v_dual_add_f32 v58, v38, v62
	v_sub_f32_e32 v61, v61, v52
	v_add_f32_e32 v59, v39, v73
	v_dual_sub_f32 v39, v39, v73 :: v_dual_add_f32 v52, v69, v74
	s_delay_alu instid0(VALU_DEP_4)
	v_dual_add_f32 v54, v32, v75 :: v_dual_add_f32 v53, v63, v76
	v_sub_f32_e32 v50, v69, v74
	v_add_f32_e32 v55, v33, v78
	v_dual_sub_f32 v89, v32, v75 :: v_dual_sub_f32 v90, v33, v78
	v_sub_f32_e32 v51, v63, v76
	v_dual_add_f32 v57, v64, v71 :: v_dual_sub_f32 v38, v38, v62
	v_sub_f32_e32 v62, v64, v71
	ds_store_2addr_b64 v108, v[28:29], v[40:41] offset1:17
	ds_store_2addr_b64 v108, v[42:43], v[30:31] offset0:34 offset1:51
	ds_store_2addr_b64 v108, v[44:45], v[46:47] offset0:68 offset1:85
	ds_store_2addr_b64 v107, v[34:35], v[56:57] offset1:17
	ds_store_2addr_b64 v107, v[58:59], v[36:37] offset0:34 offset1:51
	ds_store_2addr_b64 v107, v[61:62], v[38:39] offset0:68 offset1:85
	s_and_saveexec_b32 s1, s0
	s_cbranch_execz .LBB0_11
; %bb.10:
	v_add_lshl_u32 v28, v60, v106, 3
	v_dual_add_f32 v25, v25, v27 :: v_dual_add_f32 v24, v24, v26
	s_delay_alu instid0(VALU_DEP_2)
	v_add_nc_u32_e32 v26, 0x2000, v28
	v_add_nc_u32_e32 v27, 0x2800, v28
	ds_store_2addr_b64 v26, v[24:25], v[52:53] offset0:200 offset1:217
	ds_store_2addr_b64 v26, v[54:55], v[48:49] offset0:234 offset1:251
	;; [unrolled: 1-line block ×3, first 2 shown]
.LBB0_11:
	s_wait_alu 0xfffe
	s_or_b32 exec_lo, exec_lo, s1
	v_mad_co_u64_u32 v[28:29], null, 0x60, v102, s[2:3]
	global_wb scope:SCOPE_SE
	s_wait_dscnt 0x0
	s_barrier_signal -1
	s_barrier_wait -1
	global_inv scope:SCOPE_SE
	s_clause 0x5
	global_load_b128 v[44:47], v[28:29], off offset:680
	global_load_b128 v[40:43], v[28:29], off offset:696
	;; [unrolled: 1-line block ×6, first 2 shown]
	ds_load_2addr_b64 v[56:59], v104 offset1:102
	s_wait_loadcnt_dscnt 0x500
	v_dual_mul_f32 v71, v59, v45 :: v_dual_add_nc_u32 v60, 0x400, v104
	ds_load_2addr_b64 v[67:70], v60 offset0:76 offset1:178
	v_add_nc_u32_e32 v61, 0x800, v104
	v_dual_mul_f32 v81, v58, v45 :: v_dual_add_nc_u32 v60, 0x1000, v104
	v_fma_f32 v122, v58, v44, -v71
	ds_load_2addr_b64 v[91:94], v60 offset0:100 offset1:202
	s_wait_dscnt 0x1
	v_dual_mul_f32 v99, v67, v47 :: v_dual_add_nc_u32 v60, 0x1c00, v104
	v_mul_f32_e32 v74, v68, v47
	ds_load_2addr_b64 v[75:78], v61 offset0:152 offset1:254
	s_wait_loadcnt 0x4
	v_dual_mul_f32 v100, v70, v41 :: v_dual_add_nc_u32 v61, 0x1800, v104
	ds_load_2addr_b64 v[95:98], v61 offset0:48 offset1:150
	ds_load_2addr_b64 v[109:112], v60 offset0:124 offset1:226
	ds_load_b64 v[79:80], v104 offset:9792
	s_wait_loadcnt_dscnt 0x304
	v_dual_mul_f32 v105, v69, v41 :: v_dual_mul_f32 v60, v91, v35
	s_wait_loadcnt 0x2
	v_mul_f32_e32 v61, v93, v25
	v_fmac_f32_e32 v81, v59, v44
	v_dual_mul_f32 v115, v92, v35 :: v_dual_mul_f32 v116, v94, v25
	v_fma_f32 v123, v67, v46, -v74
	v_fmac_f32_e32 v60, v92, v34
	v_fma_f32 v100, v69, v40, -v100
	s_delay_alu instid0(VALU_DEP_4)
	v_fma_f32 v58, v91, v34, -v115
	v_fma_f32 v59, v93, v24, -v116
	s_wait_dscnt 0x3
	v_dual_mul_f32 v113, v76, v43 :: v_dual_mul_f32 v114, v78, v33
	v_dual_mul_f32 v73, v75, v43 :: v_dual_mul_f32 v72, v77, v33
	s_wait_loadcnt_dscnt 0x102
	v_dual_mul_f32 v117, v96, v27 :: v_dual_mul_f32 v118, v98, v37
	v_mul_f32_e32 v66, v95, v27
	s_wait_dscnt 0x1
	v_dual_mul_f32 v62, v97, v37 :: v_dual_mul_f32 v119, v110, v39
	s_wait_loadcnt 0x0
	v_dual_mul_f32 v63, v109, v39 :: v_dual_mul_f32 v120, v112, v29
	s_wait_dscnt 0x0
	v_dual_mul_f32 v64, v111, v29 :: v_dual_mul_f32 v121, v80, v31
	v_dual_mul_f32 v65, v79, v31 :: v_dual_fmac_f32 v72, v78, v32
	v_dual_fmac_f32 v99, v68, v46 :: v_dual_fmac_f32 v62, v98, v36
	v_dual_fmac_f32 v105, v70, v40 :: v_dual_fmac_f32 v66, v96, v26
	v_fma_f32 v74, v77, v32, -v114
	v_fma_f32 v71, v95, v26, -v117
	v_dual_fmac_f32 v63, v110, v38 :: v_dual_fmac_f32 v64, v112, v28
	v_fma_f32 v67, v79, v30, -v121
	v_fmac_f32_e32 v65, v80, v30
	v_add_f32_e32 v77, v57, v81
	v_fma_f32 v75, v75, v42, -v113
	v_dual_add_f32 v92, v99, v64 :: v_dual_fmac_f32 v73, v76, v42
	v_add_f32_e32 v78, v122, v67
	v_dual_fmac_f32 v61, v94, v24 :: v_dual_add_f32 v76, v56, v122
	v_fma_f32 v70, v97, v36, -v118
	v_fma_f32 v68, v111, v28, -v120
	v_dual_sub_f32 v80, v122, v67 :: v_dual_add_f32 v79, v81, v65
	v_dual_sub_f32 v94, v99, v64 :: v_dual_sub_f32 v81, v81, v65
	v_dual_add_f32 v114, v72, v66 :: v_dual_add_f32 v113, v74, v71
	v_dual_sub_f32 v116, v72, v66 :: v_dual_add_f32 v77, v77, v99
	s_delay_alu instid0(VALU_DEP_3)
	v_mul_f32_e32 v122, 0xbf6f5d39, v81
	v_fma_f32 v69, v109, v38, -v119
	v_dual_sub_f32 v93, v123, v68 :: v_dual_sub_f32 v98, v105, v63
	v_dual_add_f32 v109, v75, v70 :: v_dual_add_f32 v76, v76, v123
	v_dual_sub_f32 v111, v75, v70 :: v_dual_mul_f32 v118, 0xbf52af12, v81
	v_mul_f32_e32 v99, 0xbeedf032, v81
	v_dual_mul_f32 v164, 0x3eedf032, v116 :: v_dual_add_f32 v77, v77, v105
	v_dual_add_f32 v91, v123, v68 :: v_dual_add_f32 v96, v105, v63
	v_dual_add_f32 v95, v100, v69 :: v_dual_add_f32 v110, v73, v62
	v_dual_sub_f32 v97, v100, v69 :: v_dual_sub_f32 v112, v73, v62
	v_dual_sub_f32 v115, v74, v71 :: v_dual_mul_f32 v120, 0xbf7e222b, v81
	v_dual_mul_f32 v119, 0xbf52af12, v80 :: v_dual_mul_f32 v126, 0xbf52af12, v94
	v_dual_mul_f32 v121, 0xbf7e222b, v80 :: v_dual_mul_f32 v136, 0xbf7e222b, v98
	;; [unrolled: 1-line block ×5, first 2 shown]
	v_mul_f32_e32 v131, 0xbe750f2a, v93
	v_dual_mul_f32 v132, 0x3f29c268, v94 :: v_dual_mul_f32 v133, 0x3f29c268, v93
	v_dual_mul_f32 v134, 0x3f7e222b, v94 :: v_dual_mul_f32 v135, 0x3f7e222b, v93
	v_mul_f32_e32 v94, 0x3eedf032, v94
	v_dual_mul_f32 v142, 0x3eedf032, v98 :: v_dual_mul_f32 v143, 0x3eedf032, v97
	v_add_f32_e32 v76, v76, v100
	v_fma_f32 v100, 0x3f62ad3f, v78, -v99
	v_fma_f32 v165, 0x3f116cb1, v78, -v118
	v_dual_fmac_f32 v118, 0x3f116cb1, v78 :: v_dual_add_f32 v73, v77, v73
	v_mul_f32_e32 v117, 0xbeedf032, v80
	v_mul_f32_e32 v80, 0xbe750f2a, v80
	v_dual_mul_f32 v127, 0xbf52af12, v93 :: v_dual_mul_f32 v144, 0xbf52af12, v98
	v_dual_mul_f32 v129, 0xbf6f5d39, v93 :: v_dual_mul_f32 v146, 0xbf6f5d39, v112
	v_mul_f32_e32 v93, 0x3eedf032, v93
	v_dual_mul_f32 v137, 0xbf7e222b, v97 :: v_dual_mul_f32 v152, 0xbf7e222b, v112
	v_mul_f32_e32 v147, 0xbf6f5d39, v111
	v_dual_mul_f32 v148, 0x3f29c268, v112 :: v_dual_mul_f32 v149, 0x3f29c268, v111
	v_dual_mul_f32 v156, 0xbf29c268, v116 :: v_dual_mul_f32 v157, 0xbf29c268, v115
	v_fmac_f32_e32 v99, 0x3f62ad3f, v78
	v_dual_fmamk_f32 v166, v79, 0x3f116cb1, v119 :: v_dual_add_f32 v75, v76, v75
	v_fma_f32 v119, 0x3f116cb1, v79, -v119
	v_fma_f32 v167, 0x3df6dbef, v78, -v120
	v_fmac_f32_e32 v120, 0x3df6dbef, v78
	v_fma_f32 v169, 0xbeb58ec6, v78, -v122
	v_fma_f32 v171, 0xbf3f9e67, v78, -v124
	v_fmamk_f32 v172, v79, 0xbf3f9e67, v125
	v_fmac_f32_e32 v124, 0xbf3f9e67, v78
	v_fma_f32 v125, 0xbf3f9e67, v79, -v125
	v_fma_f32 v173, 0xbf788fa5, v78, -v81
	v_dual_fmamk_f32 v174, v79, 0xbf788fa5, v80 :: v_dual_fmac_f32 v81, 0xbf788fa5, v78
	v_fma_f32 v183, 0x3f62ad3f, v91, -v94
	v_fmac_f32_e32 v94, 0x3f62ad3f, v91
	v_fma_f32 v189, 0x3f62ad3f, v95, -v142
	v_fmac_f32_e32 v142, 0x3f62ad3f, v95
	v_dual_fmamk_f32 v170, v79, 0xbeb58ec6, v123 :: v_dual_add_f32 v99, v56, v99
	v_fma_f32 v123, 0xbeb58ec6, v79, -v123
	v_add_f32_e32 v76, v56, v100
	v_fmac_f32_e32 v122, 0xbeb58ec6, v78
	v_fma_f32 v78, 0xbf788fa5, v79, -v80
	v_dual_add_f32 v118, v56, v118 :: v_dual_fmamk_f32 v105, v79, 0x3f62ad3f, v117
	v_fma_f32 v117, 0x3f62ad3f, v79, -v117
	v_fmamk_f32 v168, v79, 0x3df6dbef, v121
	v_fma_f32 v121, 0x3df6dbef, v79, -v121
	v_fma_f32 v79, 0x3f116cb1, v91, -v126
	v_dual_add_f32 v77, v57, v105 :: v_dual_mul_f32 v138, 0xbe750f2a, v98
	v_mul_f32_e32 v139, 0xbe750f2a, v97
	v_dual_mul_f32 v140, 0x3f6f5d39, v98 :: v_dual_mul_f32 v141, 0x3f6f5d39, v97
	v_dual_mul_f32 v150, 0x3eedf032, v112 :: v_dual_mul_f32 v151, 0x3eedf032, v111
	v_dual_mul_f32 v153, 0xbf7e222b, v111 :: v_dual_add_f32 v100, v57, v117
	v_dual_mul_f32 v154, 0x3e750f2a, v112 :: v_dual_mul_f32 v155, 0x3e750f2a, v111
	v_dual_fmamk_f32 v80, v92, 0x3f116cb1, v127 :: v_dual_add_f32 v117, v57, v166
	v_dual_fmac_f32 v126, 0x3f116cb1, v91 :: v_dual_add_f32 v121, v57, v121
	v_fma_f32 v127, 0x3f116cb1, v92, -v127
	v_fma_f32 v175, 0xbeb58ec6, v91, -v128
	v_dual_fmamk_f32 v176, v92, 0xbeb58ec6, v129 :: v_dual_add_f32 v119, v57, v119
	v_fmac_f32_e32 v128, 0xbeb58ec6, v91
	v_fma_f32 v129, 0xbeb58ec6, v92, -v129
	v_fma_f32 v177, 0xbf788fa5, v91, -v130
	v_dual_fmamk_f32 v178, v92, 0xbf788fa5, v131 :: v_dual_add_f32 v123, v57, v123
	v_dual_fmac_f32 v130, 0xbf788fa5, v91 :: v_dual_add_f32 v125, v57, v125
	v_fma_f32 v131, 0xbf788fa5, v92, -v131
	v_fma_f32 v179, 0xbf3f9e67, v91, -v132
	v_fmamk_f32 v180, v92, 0xbf3f9e67, v133
	v_fmac_f32_e32 v132, 0xbf3f9e67, v91
	v_fma_f32 v133, 0xbf3f9e67, v92, -v133
	v_fma_f32 v181, 0x3df6dbef, v91, -v134
	v_fmamk_f32 v182, v92, 0x3df6dbef, v135
	v_fmac_f32_e32 v134, 0x3df6dbef, v91
	v_fma_f32 v135, 0x3df6dbef, v92, -v135
	v_fmamk_f32 v184, v92, 0x3f62ad3f, v93
	v_fma_f32 v91, 0x3f62ad3f, v92, -v93
	v_fma_f32 v92, 0x3df6dbef, v95, -v136
	v_dual_fmamk_f32 v196, v110, 0xbf3f9e67, v149 :: v_dual_add_f32 v105, v56, v165
	v_dual_add_f32 v165, v56, v167 :: v_dual_add_f32 v72, v73, v72
	v_add_f32_e32 v73, v79, v76
	v_dual_mul_f32 v161, 0xbf52af12, v115 :: v_dual_add_f32 v166, v57, v168
	v_dual_fmac_f32 v136, 0x3df6dbef, v95 :: v_dual_add_f32 v79, v176, v117
	v_fma_f32 v185, 0xbf788fa5, v95, -v138
	v_fmamk_f32 v186, v96, 0xbf788fa5, v139
	v_fmac_f32_e32 v138, 0xbf788fa5, v95
	v_fma_f32 v187, 0xbeb58ec6, v95, -v140
	v_fma_f32 v197, 0x3f62ad3f, v109, -v150
	v_fmac_f32_e32 v150, 0x3f62ad3f, v109
	v_fma_f32 v199, 0x3df6dbef, v109, -v152
	v_dual_fmamk_f32 v200, v110, 0x3df6dbef, v153 :: v_dual_add_f32 v73, v92, v73
	v_fma_f32 v201, 0xbf788fa5, v109, -v154
	v_add_f32_e32 v168, v57, v170
	v_add_f32_e32 v170, v57, v172
	;; [unrolled: 1-line block ×3, first 2 shown]
	v_dual_add_f32 v57, v57, v78 :: v_dual_add_f32 v76, v126, v99
	v_add_f32_e32 v99, v177, v165
	v_dual_mul_f32 v145, 0xbf52af12, v97 :: v_dual_mul_f32 v160, 0xbf52af12, v116
	v_dual_mul_f32 v98, 0xbf29c268, v98 :: v_dual_mul_f32 v97, 0xbf29c268, v97
	v_fmamk_f32 v93, v96, 0x3df6dbef, v137
	v_fma_f32 v137, 0x3df6dbef, v96, -v137
	v_dual_fmamk_f32 v198, v110, 0x3f62ad3f, v151 :: v_dual_add_f32 v57, v91, v57
	v_dual_fmac_f32 v152, 0x3df6dbef, v109 :: v_dual_add_f32 v91, v187, v99
	v_dual_add_f32 v74, v75, v74 :: v_dual_add_f32 v75, v80, v77
	v_dual_add_f32 v77, v127, v100 :: v_dual_fmac_f32 v140, 0xbeb58ec6, v95
	v_add_f32_e32 v117, v131, v121
	v_fma_f32 v191, 0x3f116cb1, v95, -v144
	v_fmac_f32_e32 v144, 0x3f116cb1, v95
	v_fma_f32 v193, 0xbf3f9e67, v95, -v98
	v_dual_fmamk_f32 v194, v96, 0xbf3f9e67, v97 :: v_dual_add_f32 v125, v135, v125
	v_fmac_f32_e32 v98, 0xbf3f9e67, v95
	v_fma_f32 v95, 0xbf3f9e67, v96, -v97
	v_fmamk_f32 v97, v110, 0xbeb58ec6, v147
	v_fma_f32 v147, 0xbeb58ec6, v110, -v147
	v_dual_fmamk_f32 v202, v110, 0xbf788fa5, v155 :: v_dual_add_f32 v77, v137, v77
	v_add_f32_e32 v167, v56, v169
	v_dual_add_f32 v120, v56, v120 :: v_dual_add_f32 v57, v95, v57
	s_delay_alu instid0(VALU_DEP_3) | instskip(SKIP_1) | instid1(VALU_DEP_4)
	v_dual_add_f32 v122, v56, v122 :: v_dual_add_f32 v77, v147, v77
	v_add_f32_e32 v80, v128, v118
	v_add_f32_e32 v118, v179, v167
	v_dual_mul_f32 v112, 0x3f52af12, v112 :: v_dual_mul_f32 v111, 0x3f52af12, v111
	v_dual_mul_f32 v158, 0x3f7e222b, v116 :: v_dual_mul_f32 v159, 0x3f7e222b, v115
	v_fma_f32 v139, 0xbf788fa5, v96, -v139
	v_fmamk_f32 v188, v96, 0xbeb58ec6, v141
	v_fma_f32 v141, 0xbeb58ec6, v96, -v141
	v_dual_fmamk_f32 v190, v96, 0x3f62ad3f, v143 :: v_dual_add_f32 v121, v133, v123
	v_fma_f32 v143, 0x3f62ad3f, v96, -v143
	v_fmamk_f32 v192, v96, 0x3f116cb1, v145
	v_fma_f32 v145, 0x3f116cb1, v96, -v145
	v_fma_f32 v96, 0xbeb58ec6, v109, -v146
	v_dual_fmac_f32 v146, 0xbeb58ec6, v109 :: v_dual_add_f32 v169, v56, v171
	v_dual_fmac_f32 v154, 0xbf788fa5, v109 :: v_dual_add_f32 v99, v189, v118
	v_add_f32_e32 v171, v56, v173
	v_dual_add_f32 v78, v175, v105 :: v_dual_add_f32 v105, v130, v120
	v_add_f32_e32 v120, v132, v122
	v_fma_f32 v195, 0xbf3f9e67, v109, -v148
	v_dual_fmac_f32 v148, 0xbf3f9e67, v109 :: v_dual_add_f32 v75, v93, v75
	v_fma_f32 v203, 0x3f116cb1, v109, -v112
	v_fmac_f32_e32 v112, 0x3f116cb1, v109
	v_dual_fmamk_f32 v206, v114, 0x3df6dbef, v159 :: v_dual_add_f32 v93, v140, v105
	v_add_f32_e32 v105, v142, v120
	v_dual_mul_f32 v162, 0x3e750f2a, v116 :: v_dual_mul_f32 v163, 0x3e750f2a, v115
	v_fma_f32 v149, 0xbf3f9e67, v110, -v149
	v_fmamk_f32 v204, v110, 0x3f116cb1, v111
	v_fma_f32 v109, 0x3f116cb1, v110, -v111
	v_fmamk_f32 v111, v114, 0xbf3f9e67, v157
	v_fma_f32 v207, 0x3f116cb1, v113, -v160
	v_dual_fmac_f32 v160, 0x3f116cb1, v113 :: v_dual_add_f32 v75, v97, v75
	v_add_f32_e32 v124, v56, v124
	v_dual_add_f32 v56, v56, v81 :: v_dual_add_f32 v91, v197, v91
	v_dual_add_f32 v97, v152, v105 :: v_dual_add_f32 v74, v74, v58
	v_fma_f32 v153, 0x3df6dbef, v110, -v153
	v_fma_f32 v155, 0xbf788fa5, v110, -v155
	v_fmamk_f32 v208, v114, 0x3f116cb1, v161
	v_fma_f32 v161, 0x3f116cb1, v114, -v161
	v_dual_fmamk_f32 v210, v114, 0xbf788fa5, v163 :: v_dual_add_f32 v81, v129, v119
	v_add_f32_e32 v56, v94, v56
	v_dual_add_f32 v79, v186, v79 :: v_dual_add_f32 v94, v141, v117
	v_add_f32_e32 v117, v143, v121
	v_dual_add_f32 v121, v145, v125 :: v_dual_add_f32 v74, v74, v59
	v_fma_f32 v209, 0xbf788fa5, v113, -v162
	s_delay_alu instid0(VALU_DEP_4)
	v_dual_fmac_f32 v162, 0xbf788fa5, v113 :: v_dual_add_f32 v79, v196, v79
	v_add_f32_e32 v95, v199, v99
	v_add_f32_e32 v127, v184, v172
	;; [unrolled: 1-line block ×4, first 2 shown]
	v_dual_add_f32 v117, v155, v121 :: v_dual_add_f32 v72, v72, v60
	v_add_f32_e32 v71, v74, v71
	v_add_f32_e32 v81, v139, v81
	v_fma_f32 v151, 0x3f62ad3f, v110, -v151
	v_fma_f32 v110, 0xbf3f9e67, v113, -v156
	;; [unrolled: 1-line block ×3, first 2 shown]
	v_dual_add_f32 v70, v71, v70 :: v_dual_add_f32 v71, v206, v79
	v_add_f32_e32 v72, v72, v61
	v_add_f32_e32 v73, v96, v73
	v_dual_add_f32 v81, v149, v81 :: v_dual_add_f32 v124, v134, v124
	v_add_f32_e32 v100, v178, v166
	s_delay_alu instid0(VALU_DEP_4) | instskip(SKIP_3) | instid1(VALU_DEP_4)
	v_add_f32_e32 v66, v72, v66
	v_dual_add_f32 v119, v180, v168 :: v_dual_add_f32 v122, v181, v169
	v_dual_add_f32 v126, v183, v171 :: v_dual_add_f32 v69, v70, v69
	;; [unrolled: 1-line block ×5, first 2 shown]
	v_fma_f32 v159, 0x3df6dbef, v114, -v159
	v_add_f32_e32 v92, v188, v100
	s_delay_alu instid0(VALU_DEP_4) | instskip(NEXT) | instid1(VALU_DEP_4)
	v_dual_add_f32 v62, v62, v63 :: v_dual_add_f32 v63, v69, v68
	v_dual_add_f32 v105, v154, v120 :: v_dual_add_f32 v78, v185, v78
	v_fma_f32 v205, 0x3df6dbef, v113, -v158
	v_fma_f32 v163, 0xbf788fa5, v114, -v163
	s_delay_alu instid0(VALU_DEP_4)
	v_add_f32_e32 v91, v63, v67
	v_add_f32_e32 v118, v191, v122
	v_dual_add_f32 v78, v195, v78 :: v_dual_add_f32 v93, v150, v93
	v_add_f32_e32 v123, v182, v170
	v_add_f32_e32 v57, v109, v57
	v_sub_f32_e32 v109, v58, v59
	v_add_f32_e32 v62, v62, v64
	v_add_f32_e32 v110, v60, v61
	;; [unrolled: 1-line block ×5, first 2 shown]
	v_fmac_f32_e32 v156, 0xbf3f9e67, v113
	v_add_f32_e32 v80, v138, v80
	v_dual_add_f32 v100, v190, v119 :: v_dual_sub_f32 v97, v60, v61
	v_add_f32_e32 v119, v192, v123
	v_add_f32_e32 v68, v160, v93
	v_fma_f32 v63, 0x3f62ad3f, v113, -v164
	v_add_f32_e32 v93, v163, v98
	v_add_f32_e32 v66, v205, v78
	;; [unrolled: 1-line block ×4, first 2 shown]
	v_mul_f32_e32 v62, 0x3eedf032, v115
	v_mul_f32_e32 v65, 0xbf6f5d39, v115
	v_dual_add_f32 v99, v201, v118 :: v_dual_mul_f32 v60, 0xbe750f2a, v109
	v_add_f32_e32 v94, v151, v94
	v_dual_fmac_f32 v158, 0x3df6dbef, v113 :: v_dual_add_f32 v123, v194, v127
	v_dual_add_f32 v76, v136, v76 :: v_dual_add_f32 v79, v209, v95
	s_delay_alu instid0(VALU_DEP_3)
	v_dual_add_f32 v69, v161, v94 :: v_dual_fmamk_f32 v64, v114, 0x3f62ad3f, v62
	v_dual_add_f32 v94, v63, v99 :: v_dual_mul_f32 v63, 0xbf6f5d39, v116
	v_fma_f32 v61, 0xbf788fa5, v110, -v60
	v_add_f32_e32 v96, v200, v100
	v_add_f32_e32 v100, v202, v119
	;; [unrolled: 1-line block ×5, first 2 shown]
	v_dual_add_f32 v119, v204, v123 :: v_dual_fmac_f32 v164, 0x3f62ad3f, v113
	s_delay_alu instid0(VALU_DEP_4)
	v_dual_add_f32 v95, v64, v100 :: v_dual_add_f32 v118, v203, v122
	v_fma_f32 v64, 0xbeb58ec6, v113, -v63
	v_fmamk_f32 v67, v114, 0xbeb58ec6, v65
	v_add_f32_e32 v61, v61, v75
	v_mul_f32_e32 v75, 0x3f52af12, v109
	v_fma_f32 v62, 0x3f62ad3f, v114, -v62
	s_delay_alu instid0(VALU_DEP_4)
	v_dual_add_f32 v99, v64, v118 :: v_dual_add_f32 v100, v67, v119
	v_mul_f32_e32 v64, 0xbe750f2a, v97
	v_dual_mul_f32 v67, 0x3eedf032, v109 :: v_dual_add_f32 v74, v156, v76
	v_add_f32_e32 v76, v158, v80
	v_add_f32_e32 v80, v210, v96
	v_dual_add_f32 v96, v164, v105 :: v_dual_add_f32 v105, v58, v59
	v_fma_f32 v58, 0xbeb58ec6, v114, -v65
	v_add_f32_e32 v56, v112, v56
	v_add_f32_e32 v98, v62, v117
	v_fmac_f32_e32 v63, 0xbeb58ec6, v113
	v_fma_f32 v59, 0xbf788fa5, v105, -v64
	v_add_f32_e32 v57, v58, v57
	v_mul_f32_e32 v58, 0x3eedf032, v97
	v_fmac_f32_e32 v64, 0xbf788fa5, v105
	v_add_f32_e32 v56, v63, v56
	v_dual_add_f32 v62, v59, v72 :: v_dual_fmamk_f32 v59, v110, 0xbf788fa5, v60
	s_delay_alu instid0(VALU_DEP_4) | instskip(NEXT) | instid1(VALU_DEP_4)
	v_fma_f32 v65, 0x3f62ad3f, v105, -v58
	v_add_f32_e32 v60, v64, v74
	v_mul_f32_e32 v72, 0xbf29c268, v97
	v_mul_f32_e32 v74, 0x3f52af12, v97
	s_delay_alu instid0(VALU_DEP_4) | instskip(SKIP_3) | instid1(VALU_DEP_3)
	v_dual_add_f32 v63, v59, v73 :: v_dual_add_f32 v64, v65, v66
	v_fmamk_f32 v59, v110, 0x3f62ad3f, v67
	v_fma_f32 v66, 0x3f62ad3f, v110, -v67
	v_mul_f32_e32 v67, 0xbf29c268, v109
	v_dual_fmac_f32 v58, 0x3f62ad3f, v105 :: v_dual_add_f32 v65, v59, v71
	v_fma_f32 v71, 0xbf3f9e67, v105, -v72
	s_delay_alu instid0(VALU_DEP_4) | instskip(NEXT) | instid1(VALU_DEP_4)
	v_add_f32_e32 v59, v66, v70
	v_fmamk_f32 v70, v110, 0xbf3f9e67, v67
	v_fmac_f32_e32 v72, 0xbf3f9e67, v105
	s_delay_alu instid0(VALU_DEP_4) | instskip(SKIP_1) | instid1(VALU_DEP_4)
	v_add_f32_e32 v66, v71, v77
	v_fma_f32 v71, 0xbf3f9e67, v110, -v67
	v_add_f32_e32 v67, v70, v78
	v_fma_f32 v70, 0x3f116cb1, v105, -v74
	v_add_f32_e32 v72, v72, v68
	v_fmac_f32_e32 v74, 0x3f116cb1, v105
	v_add_f32_e32 v73, v71, v69
	v_fmamk_f32 v69, v110, 0x3f116cb1, v75
	v_dual_add_f32 v68, v70, v79 :: v_dual_mul_f32 v79, 0x3f7e222b, v109
	v_add_f32_e32 v58, v58, v76
	v_mul_f32_e32 v76, 0xbf6f5d39, v97
	v_fma_f32 v71, 0x3f116cb1, v110, -v75
	v_mul_f32_e32 v77, 0xbf6f5d39, v109
	v_add_f32_e32 v70, v74, v81
	v_mul_f32_e32 v78, 0x3f7e222b, v97
	v_fma_f32 v75, 0xbeb58ec6, v105, -v76
	v_dual_fmac_f32 v76, 0xbeb58ec6, v105 :: v_dual_add_f32 v69, v69, v80
	v_add_f32_e32 v71, v71, v93
	s_delay_alu instid0(VALU_DEP_3) | instskip(SKIP_1) | instid1(VALU_DEP_4)
	v_dual_add_f32 v74, v75, v94 :: v_dual_fmamk_f32 v75, v110, 0xbeb58ec6, v77
	v_fma_f32 v77, 0xbeb58ec6, v110, -v77
	v_add_f32_e32 v80, v76, v96
	v_fma_f32 v76, 0x3df6dbef, v105, -v78
	v_fmac_f32_e32 v78, 0x3df6dbef, v105
	v_lshl_add_u32 v105, v102, 3, v103
	v_add_f32_e32 v81, v77, v98
	v_fmamk_f32 v77, v110, 0x3df6dbef, v79
	v_fma_f32 v79, 0x3df6dbef, v110, -v79
	v_add_f32_e32 v75, v75, v95
	v_dual_add_f32 v76, v76, v99 :: v_dual_add_nc_u32 v93, 0x1800, v105
	s_delay_alu instid0(VALU_DEP_3)
	v_dual_add_f32 v78, v78, v56 :: v_dual_add_f32 v79, v79, v57
	v_add_nc_u32_e32 v56, 0x800, v105
	v_add_nc_u32_e32 v57, 0x1400, v105
	v_dual_add_f32 v77, v77, v100 :: v_dual_add_nc_u32 v94, 0x2000, v105
	v_add_nc_u32_e32 v95, 0xc00, v105
	ds_store_b64 v105, v[91:92]
	ds_store_2addr_b64 v105, v[62:63], v[64:65] offset0:102 offset1:204
	ds_store_2addr_b64 v56, v[66:67], v[68:69] offset0:50 offset1:152
	;; [unrolled: 1-line block ×6, first 2 shown]
	global_wb scope:SCOPE_SE
	s_wait_dscnt 0x0
	s_barrier_signal -1
	s_barrier_wait -1
	global_inv scope:SCOPE_SE
	s_and_saveexec_b32 s1, vcc_lo
	s_cbranch_execz .LBB0_13
; %bb.12:
	global_load_b64 v[95:96], v101, s[8:9] offset:10608
	s_add_nc_u64 s[2:3], s[8:9], 0x2970
	s_clause 0xf
	global_load_b64 v[99:100], v101, s[2:3] offset:624
	global_load_b64 v[137:138], v101, s[2:3] offset:1248
	;; [unrolled: 1-line block ×16, first 2 shown]
	ds_load_b64 v[97:98], v105
	v_add_nc_u32_e32 v168, 0x400, v105
	v_add_nc_u32_e32 v169, 0x1000, v105
	s_wait_loadcnt_dscnt 0x1000
	v_mul_f32_e32 v109, v98, v96
	v_mul_f32_e32 v110, v97, v96
	s_delay_alu instid0(VALU_DEP_2) | instskip(NEXT) | instid1(VALU_DEP_2)
	v_fma_f32 v109, v97, v95, -v109
	v_fmac_f32_e32 v110, v98, v95
	ds_store_b64 v105, v[109:110]
	ds_load_2addr_b64 v[95:98], v105 offset0:78 offset1:156
	ds_load_2addr_b64 v[109:112], v168 offset0:106 offset1:184
	v_add_nc_u32_e32 v170, 0x1c00, v105
	ds_load_2addr_b64 v[113:116], v56 offset0:134 offset1:212
	ds_load_2addr_b64 v[117:120], v169 offset0:34 offset1:112
	s_wait_loadcnt_dscnt 0xf03
	v_mul_f32_e32 v167, v95, v100
	ds_load_2addr_b64 v[121:124], v57 offset0:62 offset1:140
	ds_load_2addr_b64 v[125:128], v93 offset0:90 offset1:168
	;; [unrolled: 1-line block ×4, first 2 shown]
	s_wait_loadcnt 0xe
	v_dual_mul_f32 v171, v96, v100 :: v_dual_mul_f32 v172, v98, v138
	s_wait_loadcnt_dscnt 0xd06
	v_dual_mul_f32 v100, v97, v138 :: v_dual_mul_f32 v173, v110, v140
	v_mul_f32_e32 v138, v109, v140
	s_wait_loadcnt_dscnt 0xb05
	v_dual_mul_f32 v174, v112, v142 :: v_dual_mul_f32 v175, v114, v144
	s_wait_loadcnt_dscnt 0x904
	v_dual_mul_f32 v140, v111, v142 :: v_dual_mul_f32 v177, v118, v148
	v_mul_f32_e32 v142, v113, v144
	v_mul_f32_e32 v176, v116, v146
	;; [unrolled: 1-line block ×4, first 2 shown]
	s_wait_loadcnt 0x8
	v_mul_f32_e32 v178, v120, v150
	v_dual_mul_f32 v148, v119, v150 :: v_dual_fmac_f32 v167, v96, v99
	s_wait_loadcnt_dscnt 0x703
	v_mul_f32_e32 v179, v122, v152
	v_mul_f32_e32 v150, v121, v152
	s_wait_loadcnt_dscnt 0x100
	v_dual_mul_f32 v180, v124, v154 :: v_dual_mul_f32 v185, v134, v164
	v_dual_mul_f32 v152, v123, v154 :: v_dual_mul_f32 v181, v126, v156
	v_mul_f32_e32 v154, v125, v156
	v_mul_f32_e32 v182, v128, v158
	v_dual_mul_f32 v156, v127, v158 :: v_dual_mul_f32 v183, v130, v160
	v_mul_f32_e32 v158, v129, v160
	v_mul_f32_e32 v184, v132, v162
	;; [unrolled: 1-line block ×4, first 2 shown]
	s_wait_loadcnt 0x0
	v_mul_f32_e32 v186, v136, v166
	v_mul_f32_e32 v164, v135, v166
	v_fma_f32 v166, v95, v99, -v171
	v_fma_f32 v99, v97, v137, -v172
	v_fmac_f32_e32 v100, v98, v137
	v_fma_f32 v137, v109, v139, -v173
	v_fmac_f32_e32 v138, v110, v139
	;; [unrolled: 2-line block ×15, first 2 shown]
	ds_store_2addr_b64 v105, v[166:167], v[99:100] offset0:78 offset1:156
	ds_store_2addr_b64 v168, v[137:138], v[139:140] offset0:106 offset1:184
	;; [unrolled: 1-line block ×8, first 2 shown]
.LBB0_13:
	s_wait_alu 0xfffe
	s_or_b32 exec_lo, exec_lo, s1
	global_wb scope:SCOPE_SE
	s_wait_dscnt 0x0
	s_barrier_signal -1
	s_barrier_wait -1
	global_inv scope:SCOPE_SE
	s_and_saveexec_b32 s1, vcc_lo
	s_cbranch_execz .LBB0_15
; %bb.14:
	v_add_nc_u32_e32 v48, 0x400, v105
	v_add_nc_u32_e32 v49, 0x800, v105
	;; [unrolled: 1-line block ×3, first 2 shown]
	ds_load_b64 v[91:92], v105
	ds_load_2addr_b64 v[62:65], v105 offset0:78 offset1:156
	ds_load_2addr_b64 v[66:69], v48 offset0:106 offset1:184
	;; [unrolled: 1-line block ×3, first 2 shown]
	v_add_nc_u32_e32 v48, 0x1000, v105
	v_add_nc_u32_e32 v49, 0x1400, v105
	;; [unrolled: 1-line block ×4, first 2 shown]
	ds_load_2addr_b64 v[78:81], v48 offset0:34 offset1:112
	ds_load_2addr_b64 v[70:73], v49 offset0:62 offset1:140
	;; [unrolled: 1-line block ×5, first 2 shown]
.LBB0_15:
	s_wait_alu 0xfffe
	s_or_b32 exec_lo, exec_lo, s1
	s_wait_dscnt 0x0
	v_dual_sub_f32 v142, v63, v51 :: v_dual_add_f32 v109, v50, v62
	v_dual_add_f32 v143, v51, v63 :: v_dual_sub_f32 v110, v62, v50
	s_delay_alu instid0(VALU_DEP_2) | instskip(SKIP_1) | instid1(VALU_DEP_3)
	v_dual_sub_f32 v164, v67, v55 :: v_dual_mul_f32 v197, 0xbeb8f4ab, v142
	v_dual_mul_f32 v127, 0xbf7ee86f, v142 :: v_dual_sub_f32 v154, v65, v49
	v_mul_f32_e32 v116, 0x3f3d2fb0, v143
	v_mul_f32_e32 v115, 0xbf2c7751, v142
	v_dual_mul_f32 v131, 0x3dbcf732, v143 :: v_dual_sub_f32 v112, v64, v48
	s_delay_alu instid0(VALU_DEP_4) | instskip(NEXT) | instid1(VALU_DEP_4)
	v_dual_add_f32 v155, v49, v65 :: v_dual_mul_f32 v120, 0xbf7ee86f, v154
	v_fmamk_f32 v94, v110, 0xbf2c7751, v116
	s_delay_alu instid0(VALU_DEP_4) | instskip(SKIP_2) | instid1(VALU_DEP_3)
	v_fma_f32 v93, 0x3f3d2fb0, v109, -v115
	v_fma_f32 v56, 0x3f6eb680, v109, -v197
	v_dual_fmamk_f32 v98, v110, 0xbf7ee86f, v131 :: v_dual_add_f32 v111, v48, v64
	v_dual_mul_f32 v206, 0x3f3d2fb0, v155 :: v_dual_add_f32 v93, v91, v93
	v_mul_f32_e32 v203, 0xbf2c7751, v154
	s_delay_alu instid0(VALU_DEP_3) | instskip(SKIP_1) | instid1(VALU_DEP_4)
	v_dual_mul_f32 v121, 0x3ee437d1, v143 :: v_dual_add_f32 v98, v92, v98
	v_dual_mul_f32 v119, 0xbf65296c, v142 :: v_dual_add_f32 v56, v91, v56
	v_fmamk_f32 v114, v112, 0xbf2c7751, v206
	s_delay_alu instid0(VALU_DEP_3) | instskip(SKIP_4) | instid1(VALU_DEP_4)
	v_fmamk_f32 v96, v110, 0xbf65296c, v121
	v_fma_f32 v113, 0x3f3d2fb0, v111, -v203
	v_dual_mul_f32 v199, 0x3f6eb680, v143 :: v_dual_add_f32 v94, v92, v94
	v_fma_f32 v95, 0x3ee437d1, v109, -v119
	v_fma_f32 v97, 0x3dbcf732, v109, -v127
	v_dual_add_f32 v56, v113, v56 :: v_dual_mul_f32 v141, 0xbf7ba420, v155
	v_mul_f32_e32 v136, 0xbe3c28d5, v154
	v_dual_fmamk_f32 v57, v110, 0xbeb8f4ab, v199 :: v_dual_add_f32 v96, v92, v96
	v_dual_add_f32 v95, v91, v95 :: v_dual_mul_f32 v140, 0xbf763a35, v142
	v_dual_add_f32 v97, v91, v97 :: v_dual_mul_f32 v144, 0xbe8c1d8e, v143
	v_fmamk_f32 v123, v112, 0xbe3c28d5, v141
	v_fma_f32 v118, 0xbf7ba420, v111, -v136
	v_add_f32_e32 v57, v92, v57
	v_fma_f32 v99, 0xbe8c1d8e, v109, -v140
	v_fmamk_f32 v100, v110, 0xbf763a35, v144
	v_fma_f32 v117, 0x3dbcf732, v111, -v120
	v_mul_f32_e32 v122, 0x3dbcf732, v155
	v_dual_mul_f32 v130, 0xbf1a4643, v155 :: v_dual_add_f32 v97, v118, v97
	v_dual_mul_f32 v126, 0xbf4c4adb, v154 :: v_dual_add_f32 v99, v91, v99
	v_dual_add_f32 v100, v92, v100 :: v_dual_add_f32 v57, v114, v57
	v_add_f32_e32 v93, v117, v93
	s_delay_alu instid0(VALU_DEP_4) | instskip(SKIP_3) | instid1(VALU_DEP_4)
	v_fmamk_f32 v117, v112, 0xbf4c4adb, v130
	v_fmamk_f32 v113, v112, 0xbf7ee86f, v122
	v_fma_f32 v114, 0xbf1a4643, v111, -v126
	v_dual_mul_f32 v152, 0x3f06c442, v154 :: v_dual_add_f32 v165, v55, v67
	v_add_f32_e32 v96, v117, v96
	s_delay_alu instid0(VALU_DEP_3)
	v_dual_add_f32 v94, v113, v94 :: v_dual_add_f32 v95, v114, v95
	v_add_f32_e32 v113, v54, v66
	v_dual_sub_f32 v114, v66, v54 :: v_dual_mul_f32 v125, 0xbf4c4adb, v164
	v_fma_f32 v117, 0xbf59a7d5, v111, -v152
	v_mul_f32_e32 v210, 0x3ee437d1, v165
	v_dual_add_f32 v175, v53, v69 :: v_dual_add_f32 v98, v123, v98
	v_mul_f32_e32 v209, 0xbf65296c, v164
	s_delay_alu instid0(VALU_DEP_3) | instskip(SKIP_3) | instid1(VALU_DEP_4)
	v_dual_add_f32 v99, v117, v99 :: v_dual_fmamk_f32 v124, v114, 0xbf65296c, v210
	v_mul_f32_e32 v156, 0xbf59a7d5, v155
	v_fma_f32 v117, 0xbf1a4643, v113, -v125
	v_mul_f32_e32 v138, 0xbf7ba420, v165
	v_dual_mul_f32 v134, 0x3e3c28d5, v164 :: v_dual_add_f32 v57, v124, v57
	s_delay_alu instid0(VALU_DEP_3) | instskip(SKIP_3) | instid1(VALU_DEP_4)
	v_dual_fmamk_f32 v118, v112, 0x3f06c442, v156 :: v_dual_add_f32 v93, v117, v93
	v_fma_f32 v123, 0x3ee437d1, v113, -v209
	v_mul_f32_e32 v153, 0xbe8c1d8e, v165
	v_mul_f32_e32 v148, 0x3f763a35, v164
	v_add_f32_e32 v100, v118, v100
	v_fma_f32 v118, 0xbf7ba420, v113, -v134
	v_mul_f32_e32 v128, 0xbf1a4643, v165
	v_fmamk_f32 v129, v114, 0x3f763a35, v153
	v_fma_f32 v124, 0xbe8c1d8e, v113, -v148
	v_mul_f32_e32 v161, 0x3f2c7751, v164
	v_dual_add_f32 v95, v118, v95 :: v_dual_add_f32 v56, v123, v56
	s_delay_alu instid0(VALU_DEP_4) | instskip(SKIP_2) | instid1(VALU_DEP_3)
	v_dual_fmamk_f32 v117, v114, 0xbf4c4adb, v128 :: v_dual_add_f32 v98, v129, v98
	v_sub_f32_e32 v174, v69, v53
	v_mul_f32_e32 v166, 0x3f3d2fb0, v165
	v_dual_add_f32 v97, v124, v97 :: v_dual_add_f32 v94, v117, v94
	v_add_f32_e32 v117, v52, v68
	v_fmamk_f32 v123, v114, 0x3e3c28d5, v138
	v_mul_f32_e32 v135, 0xbf7ba420, v175
	v_mul_f32_e32 v212, 0x3dbcf732, v175
	v_add_f32_e32 v185, v61, v75
	global_wb scope:SCOPE_SE
	v_add_f32_e32 v96, v123, v96
	v_fma_f32 v123, 0x3f3d2fb0, v113, -v161
	s_barrier_signal -1
	v_mul_f32_e32 v186, 0xbf7ba420, v185
	s_barrier_wait -1
	global_inv scope:SCOPE_SE
	v_dual_add_f32 v99, v123, v99 :: v_dual_sub_f32 v118, v68, v52
	v_mul_f32_e32 v133, 0xbe3c28d5, v174
	v_mul_f32_e32 v211, 0xbf7ee86f, v174
	;; [unrolled: 1-line block ×4, first 2 shown]
	v_fmamk_f32 v132, v118, 0xbf7ee86f, v212
	v_fma_f32 v123, 0xbf7ba420, v117, -v133
	v_fmamk_f32 v124, v114, 0x3f2c7751, v166
	v_fma_f32 v129, 0x3dbcf732, v117, -v211
	s_delay_alu instid0(VALU_DEP_4) | instskip(NEXT) | instid1(VALU_DEP_3)
	v_dual_sub_f32 v192, v77, v59 :: v_dual_add_f32 v57, v132, v57
	v_dual_add_f32 v93, v123, v93 :: v_dual_add_f32 v100, v124, v100
	s_delay_alu instid0(VALU_DEP_3) | instskip(SKIP_1) | instid1(VALU_DEP_4)
	v_dual_add_f32 v56, v129, v56 :: v_dual_fmamk_f32 v123, v118, 0xbe3c28d5, v135
	v_mul_f32_e32 v163, 0x3f6eb680, v175
	v_dual_mul_f32 v169, 0xbeb8f4ab, v192 :: v_dual_add_f32 v202, v73, v79
	v_mul_f32_e32 v190, 0x3f7ee86f, v192
	s_delay_alu instid0(VALU_DEP_4) | instskip(NEXT) | instid1(VALU_DEP_4)
	v_add_f32_e32 v94, v123, v94
	v_dual_mul_f32 v160, 0x3eb8f4ab, v174 :: v_dual_fmamk_f32 v123, v118, 0x3eb8f4ab, v163
	s_delay_alu instid0(VALU_DEP_4) | instskip(SKIP_1) | instid1(VALU_DEP_3)
	v_mul_f32_e32 v218, 0xbf59a7d5, v202
	v_dual_mul_f32 v191, 0xbf1a4643, v202 :: v_dual_sub_f32 v200, v79, v73
	v_fma_f32 v132, 0x3f6eb680, v117, -v160
	v_mul_f32_e32 v150, 0xbe8c1d8e, v175
	v_dual_add_f32 v208, v71, v81 :: v_dual_mul_f32 v201, 0x3f6eb680, v202
	s_delay_alu instid0(VALU_DEP_4) | instskip(NEXT) | instid1(VALU_DEP_4)
	v_mul_f32_e32 v167, 0x3f65296c, v200
	v_dual_add_f32 v97, v132, v97 :: v_dual_mul_f32 v146, 0x3f763a35, v174
	s_delay_alu instid0(VALU_DEP_4)
	v_fmamk_f32 v129, v118, 0x3f763a35, v150
	v_mul_f32_e32 v217, 0xbf06c442, v200
	v_mul_f32_e32 v180, 0xbf06c442, v192
	;; [unrolled: 1-line block ×3, first 2 shown]
	v_fma_f32 v124, 0xbe8c1d8e, v117, -v146
	v_add_f32_e32 v96, v129, v96
	v_fma_f32 v129, 0x3ee437d1, v117, -v172
	v_mul_f32_e32 v189, 0xbf59a7d5, v208
	v_mul_f32_e32 v205, 0xbf1a4643, v208
	v_dual_add_f32 v95, v124, v95 :: v_dual_sub_f32 v124, v74, v60
	s_delay_alu instid0(VALU_DEP_4) | instskip(SKIP_3) | instid1(VALU_DEP_4)
	v_dual_mul_f32 v214, 0xbe8c1d8e, v185 :: v_dual_add_f32 v99, v129, v99
	v_mul_f32_e32 v162, 0x3f3d2fb0, v185
	v_mul_f32_e32 v182, 0x3dbcf732, v202
	;; [unrolled: 1-line block ×3, first 2 shown]
	v_fmamk_f32 v137, v124, 0xbf763a35, v214
	v_mul_f32_e32 v176, 0x3ee437d1, v175
	v_mul_f32_e32 v198, 0xbeb8f4ab, v200
	;; [unrolled: 1-line block ×3, first 2 shown]
	s_delay_alu instid0(VALU_DEP_4) | instskip(NEXT) | instid1(VALU_DEP_4)
	v_dual_mul_f32 v220, 0xbf7ba420, v208 :: v_dual_add_f32 v57, v137, v57
	v_dual_sub_f32 v184, v75, v61 :: v_dual_fmamk_f32 v129, v118, 0xbf65296c, v176
	v_add_f32_e32 v98, v123, v98
	v_dual_add_f32 v123, v60, v74 :: v_dual_mul_f32 v196, 0x3f3d2fb0, v208
	s_delay_alu instid0(VALU_DEP_3) | instskip(NEXT) | instid1(VALU_DEP_4)
	v_mul_f32_e32 v213, 0xbf763a35, v184
	v_dual_add_f32 v100, v129, v100 :: v_dual_fmamk_f32 v129, v124, 0x3f06c442, v147
	v_mul_f32_e32 v145, 0x3f06c442, v184
	v_mul_f32_e32 v159, 0x3f2c7751, v184
	s_delay_alu instid0(VALU_DEP_4) | instskip(NEXT) | instid1(VALU_DEP_4)
	v_fma_f32 v132, 0xbe8c1d8e, v123, -v213
	v_dual_mul_f32 v181, 0xbe3c28d5, v184 :: v_dual_add_f32 v94, v129, v94
	s_delay_alu instid0(VALU_DEP_4) | instskip(SKIP_1) | instid1(VALU_DEP_4)
	v_fma_f32 v139, 0xbf59a7d5, v123, -v145
	v_mul_f32_e32 v215, 0xbf4c4adb, v192
	v_add_f32_e32 v56, v132, v56
	v_fmamk_f32 v132, v124, 0x3f2c7751, v162
	v_fma_f32 v129, 0x3f3d2fb0, v123, -v159
	v_add_f32_e32 v93, v139, v93
	s_delay_alu instid0(VALU_DEP_3) | instskip(NEXT) | instid1(VALU_DEP_3)
	v_dual_mul_f32 v173, 0x3ee437d1, v185 :: v_dual_add_f32 v96, v132, v96
	v_add_f32_e32 v95, v129, v95
	v_fma_f32 v129, 0xbf7ba420, v123, -v181
	s_delay_alu instid0(VALU_DEP_3) | instskip(NEXT) | instid1(VALU_DEP_2)
	v_dual_mul_f32 v170, 0xbf65296c, v184 :: v_dual_fmamk_f32 v139, v124, 0xbf65296c, v173
	v_dual_sub_f32 v132, v76, v58 :: v_dual_add_f32 v99, v129, v99
	v_add_f32_e32 v129, v58, v76
	s_delay_alu instid0(VALU_DEP_3) | instskip(NEXT) | instid1(VALU_DEP_4)
	v_fma_f32 v137, 0x3ee437d1, v123, -v170
	v_dual_add_f32 v98, v139, v98 :: v_dual_mul_f32 v157, 0x3f763a35, v192
	s_delay_alu instid0(VALU_DEP_3) | instskip(NEXT) | instid1(VALU_DEP_3)
	v_fma_f32 v139, 0xbf1a4643, v129, -v215
	v_add_f32_e32 v97, v137, v97
	s_delay_alu instid0(VALU_DEP_2) | instskip(NEXT) | instid1(VALU_DEP_1)
	v_dual_fmamk_f32 v137, v124, 0xbe3c28d5, v186 :: v_dual_add_f32 v56, v139, v56
	v_dual_add_f32 v193, v59, v77 :: v_dual_add_f32 v100, v137, v100
	v_fma_f32 v137, 0xbe8c1d8e, v129, -v157
	s_delay_alu instid0(VALU_DEP_2) | instskip(SKIP_1) | instid1(VALU_DEP_3)
	v_mul_f32_e32 v158, 0xbe8c1d8e, v193
	v_mul_f32_e32 v171, 0x3f6eb680, v193
	v_add_f32_e32 v93, v137, v93
	v_fma_f32 v137, 0x3f6eb680, v129, -v169
	v_mul_f32_e32 v216, 0xbf1a4643, v193
	v_fmamk_f32 v139, v132, 0x3f763a35, v158
	v_mul_f32_e32 v183, 0xbf59a7d5, v193
	s_delay_alu instid0(VALU_DEP_4) | instskip(NEXT) | instid1(VALU_DEP_3)
	v_dual_mul_f32 v194, 0x3dbcf732, v193 :: v_dual_add_f32 v95, v137, v95
	v_dual_add_f32 v94, v139, v94 :: v_dual_fmamk_f32 v139, v132, 0xbeb8f4ab, v171
	v_fmamk_f32 v149, v132, 0xbf4c4adb, v216
	s_delay_alu instid0(VALU_DEP_2) | instskip(NEXT) | instid1(VALU_DEP_2)
	v_dual_fmamk_f32 v137, v132, 0xbf06c442, v183 :: v_dual_add_f32 v96, v139, v96
	v_add_f32_e32 v57, v149, v57
	v_fma_f32 v139, 0x3dbcf732, v129, -v190
	s_delay_alu instid0(VALU_DEP_3) | instskip(SKIP_2) | instid1(VALU_DEP_4)
	v_add_f32_e32 v98, v137, v98
	v_add_f32_e32 v137, v72, v78
	v_fma_f32 v149, 0xbf59a7d5, v129, -v180
	v_add_f32_e32 v99, v139, v99
	v_sub_f32_e32 v139, v78, v72
	s_delay_alu instid0(VALU_DEP_4) | instskip(NEXT) | instid1(VALU_DEP_4)
	v_fma_f32 v177, 0x3ee437d1, v137, -v167
	v_add_f32_e32 v97, v149, v97
	s_delay_alu instid0(VALU_DEP_2) | instskip(NEXT) | instid1(VALU_DEP_4)
	v_add_f32_e32 v93, v177, v93
	v_fmamk_f32 v177, v139, 0x3f4c4adb, v191
	s_delay_alu instid0(VALU_DEP_1) | instskip(NEXT) | instid1(VALU_DEP_1)
	v_dual_fmamk_f32 v149, v132, 0x3f7ee86f, v194 :: v_dual_add_f32 v222, v177, v98
	v_add_f32_e32 v100, v149, v100
	v_fma_f32 v149, 0xbf59a7d5, v137, -v217
	v_mul_f32_e32 v179, 0xbf7ee86f, v200
	s_delay_alu instid0(VALU_DEP_2) | instskip(NEXT) | instid1(VALU_DEP_1)
	v_dual_add_f32 v56, v149, v56 :: v_dual_fmamk_f32 v149, v139, 0x3f65296c, v168
	v_dual_add_f32 v94, v149, v94 :: v_dual_fmamk_f32 v149, v139, 0xbf7ee86f, v182
	s_delay_alu instid0(VALU_DEP_1) | instskip(NEXT) | instid1(VALU_DEP_1)
	v_dual_fmamk_f32 v151, v139, 0xbf06c442, v218 :: v_dual_add_f32 v96, v149, v96
	v_add_f32_e32 v57, v151, v57
	v_fma_f32 v151, 0x3dbcf732, v137, -v179
	v_fma_f32 v149, 0x3f6eb680, v137, -v198
	s_delay_alu instid0(VALU_DEP_2) | instskip(SKIP_1) | instid1(VALU_DEP_1)
	v_add_f32_e32 v95, v151, v95
	v_fma_f32 v151, 0xbf1a4643, v137, -v188
	v_add_f32_e32 v221, v151, v97
	v_sub_f32_e32 v151, v80, v70
	v_sub_f32_e32 v207, v81, v71
	v_add_f32_e32 v223, v149, v99
	v_fmamk_f32 v97, v139, 0xbeb8f4ab, v201
	s_delay_alu instid0(VALU_DEP_4) | instskip(NEXT) | instid1(VALU_DEP_4)
	v_dual_fmamk_f32 v98, v151, 0xbe3c28d5, v220 :: v_dual_add_f32 v149, v70, v80
	v_mul_f32_e32 v204, 0xbf4c4adb, v207
	v_mul_f32_e32 v187, 0xbf06c442, v207
	;; [unrolled: 1-line block ×3, first 2 shown]
	v_dual_mul_f32 v177, 0x3eb8f4ab, v207 :: v_dual_add_f32 v224, v97, v100
	v_fmamk_f32 v100, v151, 0x3eb8f4ab, v178
	s_delay_alu instid0(VALU_DEP_4) | instskip(NEXT) | instid1(VALU_DEP_4)
	v_fma_f32 v195, 0xbf59a7d5, v149, -v187
	v_fma_f32 v97, 0xbf7ba420, v149, -v219
	s_delay_alu instid0(VALU_DEP_4) | instskip(NEXT) | instid1(VALU_DEP_4)
	v_fma_f32 v99, 0x3f6eb680, v149, -v177
	v_dual_add_f32 v57, v98, v57 :: v_dual_add_f32 v98, v100, v94
	v_fmamk_f32 v100, v151, 0x3f2c7751, v196
	v_add_f32_e32 v95, v195, v95
	v_dual_mul_f32 v195, 0x3f2c7751, v207 :: v_dual_add_f32 v56, v97, v56
	v_add_f32_e32 v97, v99, v93
	v_fmamk_f32 v93, v151, 0xbf06c442, v189
	v_fma_f32 v225, 0xbf1a4643, v149, -v204
	s_delay_alu instid0(VALU_DEP_4)
	v_fma_f32 v94, 0x3f3d2fb0, v149, -v195
	v_fmamk_f32 v226, v151, 0xbf4c4adb, v205
	v_add_f32_e32 v100, v100, v222
	v_add_f32_e32 v96, v93, v96
	;; [unrolled: 1-line block ×5, first 2 shown]
	s_and_saveexec_b32 s1, vcc_lo
	s_cbranch_execz .LBB0_17
; %bb.16:
	v_dual_add_f32 v63, v63, v92 :: v_dual_add_f32 v62, v62, v91
	v_mul_f32_e32 v222, 0xbf763a35, v207
	v_mul_f32_e32 v221, 0xbe8c1d8e, v208
	s_delay_alu instid0(VALU_DEP_3) | instskip(SKIP_1) | instid1(VALU_DEP_2)
	v_dual_add_f32 v63, v65, v63 :: v_dual_add_f32 v62, v64, v62
	v_mul_f32_e32 v65, 0xbf65296c, v124
	v_dual_add_f32 v63, v67, v63 :: v_dual_add_f32 v62, v66, v62
	v_mul_f32_e32 v67, 0xbeb8f4ab, v132
	s_delay_alu instid0(VALU_DEP_3) | instskip(NEXT) | instid1(VALU_DEP_3)
	v_sub_f32_e32 v65, v173, v65
	v_dual_add_f32 v63, v69, v63 :: v_dual_add_f32 v62, v68, v62
	v_mul_f32_e32 v69, 0x3f6eb680, v155
	v_mul_f32_e32 v68, 0xbf7ba420, v143
	v_sub_f32_e32 v67, v171, v67
	s_delay_alu instid0(VALU_DEP_4) | instskip(SKIP_2) | instid1(VALU_DEP_3)
	v_dual_add_f32 v63, v75, v63 :: v_dual_add_f32 v62, v74, v62
	v_mul_f32_e32 v75, 0x3f2c7751, v174
	v_mul_f32_e32 v74, 0x3f3d2fb0, v175
	v_dual_add_f32 v63, v77, v63 :: v_dual_add_f32 v62, v76, v62
	v_mul_f32_e32 v76, 0xbf1a4643, v185
	v_mul_f32_e32 v77, 0xbf4c4adb, v184
	s_delay_alu instid0(VALU_DEP_3) | instskip(SKIP_2) | instid1(VALU_DEP_3)
	v_dual_add_f32 v63, v79, v63 :: v_dual_add_f32 v62, v78, v62
	v_mul_f32_e32 v78, 0x3ee437d1, v193
	v_mul_f32_e32 v79, 0x3f65296c, v192
	v_dual_add_f32 v63, v81, v63 :: v_dual_add_f32 v62, v80, v62
	s_delay_alu instid0(VALU_DEP_1) | instskip(NEXT) | instid1(VALU_DEP_2)
	v_dual_mul_f32 v80, 0xbe8c1d8e, v202 :: v_dual_add_f32 v63, v71, v63
	v_add_f32_e32 v62, v70, v62
	v_mul_f32_e32 v70, 0xbe3c28d5, v142
	v_mul_f32_e32 v71, 0x3eb8f4ab, v154
	s_delay_alu instid0(VALU_DEP_3) | instskip(SKIP_2) | instid1(VALU_DEP_3)
	v_dual_add_f32 v63, v73, v63 :: v_dual_add_f32 v62, v72, v62
	v_mul_f32_e32 v72, 0xbf59a7d5, v165
	v_mul_f32_e32 v73, 0xbf06c442, v164
	v_dual_add_f32 v59, v59, v63 :: v_dual_add_f32 v58, v58, v62
	s_delay_alu instid0(VALU_DEP_1) | instskip(NEXT) | instid1(VALU_DEP_2)
	v_dual_mul_f32 v62, 0xbf65296c, v118 :: v_dual_add_f32 v59, v61, v59
	v_add_f32_e32 v58, v60, v58
	v_mul_f32_e32 v60, 0x3dbcf732, v117
	s_delay_alu instid0(VALU_DEP_3) | instskip(NEXT) | instid1(VALU_DEP_3)
	v_dual_mul_f32 v61, 0xbf4c4adb, v132 :: v_dual_sub_f32 v62, v176, v62
	v_dual_add_f32 v53, v53, v59 :: v_dual_add_f32 v52, v52, v58
	s_delay_alu instid0(VALU_DEP_3) | instskip(SKIP_1) | instid1(VALU_DEP_3)
	v_dual_mul_f32 v59, 0xbf763a35, v124 :: v_dual_add_f32 v60, v60, v211
	v_mul_f32_e32 v58, 0x3ee437d1, v113
	v_dual_add_f32 v53, v55, v53 :: v_dual_add_f32 v52, v54, v52
	s_delay_alu instid0(VALU_DEP_3) | instskip(NEXT) | instid1(VALU_DEP_3)
	v_sub_f32_e32 v59, v214, v59
	v_dual_mul_f32 v55, 0xbf7ee86f, v118 :: v_dual_add_f32 v58, v58, v209
	s_delay_alu instid0(VALU_DEP_3) | instskip(NEXT) | instid1(VALU_DEP_2)
	v_dual_add_f32 v49, v49, v53 :: v_dual_add_f32 v48, v48, v52
	v_dual_mul_f32 v52, 0x3f6eb680, v109 :: v_dual_sub_f32 v55, v212, v55
	v_dual_mul_f32 v54, 0x3f3d2fb0, v111 :: v_dual_sub_f32 v61, v216, v61
	s_delay_alu instid0(VALU_DEP_3) | instskip(NEXT) | instid1(VALU_DEP_3)
	v_dual_add_f32 v49, v51, v49 :: v_dual_add_f32 v48, v50, v48
	v_dual_mul_f32 v51, 0xbf2c7751, v112 :: v_dual_add_f32 v52, v52, v197
	v_mul_f32_e32 v50, 0xbeb8f4ab, v110
	s_delay_alu instid0(VALU_DEP_4) | instskip(NEXT) | instid1(VALU_DEP_3)
	v_dual_mul_f32 v53, 0xbf65296c, v114 :: v_dual_add_f32 v54, v54, v203
	v_sub_f32_e32 v51, v206, v51
	s_delay_alu instid0(VALU_DEP_3) | instskip(NEXT) | instid1(VALU_DEP_3)
	v_dual_mul_f32 v203, 0xbf59a7d5, v143 :: v_dual_sub_f32 v50, v199, v50
	v_dual_sub_f32 v53, v210, v53 :: v_dual_mul_f32 v210, 0x3f65296c, v154
	v_mul_f32_e32 v197, 0x3dbcf732, v208
	v_mul_f32_e32 v154, 0x3f763a35, v154
	s_delay_alu instid0(VALU_DEP_4) | instskip(SKIP_2) | instid1(VALU_DEP_3)
	v_dual_add_f32 v50, v92, v50 :: v_dual_mul_f32 v199, 0x3f7ee86f, v207
	v_mul_f32_e32 v206, 0x3ee437d1, v155
	v_mul_f32_e32 v209, 0xbf06c442, v142
	v_dual_mul_f32 v155, 0xbe8c1d8e, v155 :: v_dual_add_f32 v50, v51, v50
	v_add_f32_e32 v51, v91, v52
	v_mul_f32_e32 v212, 0xbf7ee86f, v164
	v_mul_f32_e32 v214, 0x3f4c4adb, v174
	v_mul_f32_e32 v63, 0xbf59a7d5, v111
	s_delay_alu instid0(VALU_DEP_4) | instskip(SKIP_1) | instid1(VALU_DEP_3)
	v_dual_mul_f32 v216, 0xbeb8f4ab, v184 :: v_dual_add_f32 v51, v54, v51
	v_dual_add_f32 v50, v53, v50 :: v_dual_mul_f32 v53, 0xbf06c442, v139
	v_dual_mul_f32 v52, 0xbe8c1d8e, v123 :: v_dual_add_f32 v63, v63, v152
	s_delay_alu instid0(VALU_DEP_2) | instskip(NEXT) | instid1(VALU_DEP_3)
	v_dual_add_f32 v51, v58, v51 :: v_dual_add_f32 v50, v55, v50
	v_sub_f32_e32 v53, v218, v53
	s_delay_alu instid0(VALU_DEP_3) | instskip(NEXT) | instid1(VALU_DEP_3)
	v_dual_add_f32 v52, v52, v213 :: v_dual_mul_f32 v213, 0xbf1a4643, v175
	v_dual_add_f32 v51, v60, v51 :: v_dual_mul_f32 v54, 0xbf1a4643, v129
	v_fmamk_f32 v60, v111, 0xbe8c1d8e, v154
	v_fmamk_f32 v55, v112, 0xbf65296c, v206
	v_mul_f32_e32 v81, 0xbf763a35, v200
	s_delay_alu instid0(VALU_DEP_4)
	v_add_f32_e32 v51, v52, v51
	v_add_f32_e32 v54, v54, v215
	;; [unrolled: 1-line block ×3, first 2 shown]
	v_mul_f32_e32 v52, 0xbf59a7d5, v137
	v_mul_f32_e32 v215, 0x3f6eb680, v185
	;; [unrolled: 1-line block ×3, first 2 shown]
	s_delay_alu instid0(VALU_DEP_4) | instskip(SKIP_3) | instid1(VALU_DEP_4)
	v_dual_add_f32 v51, v54, v51 :: v_dual_add_f32 v50, v61, v50
	v_mul_f32_e32 v54, 0xbe3c28d5, v151
	v_mul_f32_e32 v61, 0x3f06c442, v112
	v_fmamk_f32 v58, v111, 0x3ee437d1, v210
	v_dual_mul_f32 v143, 0xbf1a4643, v143 :: v_dual_add_f32 v50, v53, v50
	s_delay_alu instid0(VALU_DEP_4)
	v_sub_f32_e32 v54, v220, v54
	v_add_f32_e32 v52, v52, v217
	v_sub_f32_e32 v61, v156, v61
	v_mul_f32_e32 v217, 0xbf7ba420, v193
	v_mul_f32_e32 v218, 0xbe3c28d5, v192
	;; [unrolled: 1-line block ×3, first 2 shown]
	v_dual_add_f32 v52, v52, v51 :: v_dual_mul_f32 v51, 0xbf7ba420, v149
	v_mul_f32_e32 v142, 0xbf4c4adb, v142
	v_fmamk_f32 v59, v112, 0xbf763a35, v155
	v_mul_f32_e32 v193, 0x3f3d2fb0, v193
	s_delay_alu instid0(VALU_DEP_4) | instskip(SKIP_2) | instid1(VALU_DEP_3)
	v_dual_mul_f32 v164, 0xbeb8f4ab, v164 :: v_dual_add_f32 v53, v51, v219
	v_dual_add_f32 v51, v54, v50 :: v_dual_fmamk_f32 v54, v111, 0x3f6eb680, v71
	v_mul_f32_e32 v219, 0x3f3d2fb0, v202
	v_dual_mul_f32 v175, 0xbf59a7d5, v175 :: v_dual_add_f32 v50, v53, v52
	v_fmamk_f32 v52, v110, 0x3e3c28d5, v68
	v_fmamk_f32 v53, v112, 0xbeb8f4ab, v69
	v_mul_f32_e32 v208, 0x3ee437d1, v208
	v_mul_f32_e32 v207, 0x3f65296c, v207
	;; [unrolled: 1-line block ×3, first 2 shown]
	v_add_f32_e32 v52, v92, v52
	v_mul_f32_e32 v184, 0x3f7ee86f, v184
	v_mul_f32_e32 v192, 0xbf2c7751, v192
	;; [unrolled: 1-line block ×4, first 2 shown]
	v_add_f32_e32 v52, v53, v52
	v_fmamk_f32 v53, v109, 0xbf7ba420, v70
	v_fmac_f32_e32 v69, 0x3eb8f4ab, v112
	v_fmac_f32_e32 v155, 0x3f763a35, v112
	s_delay_alu instid0(VALU_DEP_3) | instskip(NEXT) | instid1(VALU_DEP_1)
	v_add_f32_e32 v53, v91, v53
	v_add_f32_e32 v53, v54, v53
	v_fmamk_f32 v54, v114, 0x3f06c442, v72
	v_fmac_f32_e32 v72, 0xbf06c442, v114
	s_delay_alu instid0(VALU_DEP_2) | instskip(SKIP_1) | instid1(VALU_DEP_1)
	v_add_f32_e32 v52, v54, v52
	v_fmamk_f32 v54, v113, 0xbf59a7d5, v73
	v_add_f32_e32 v53, v54, v53
	v_fmamk_f32 v54, v118, 0xbf2c7751, v74
	v_fmac_f32_e32 v68, 0xbe3c28d5, v110
	s_delay_alu instid0(VALU_DEP_2) | instskip(SKIP_1) | instid1(VALU_DEP_1)
	v_add_f32_e32 v52, v54, v52
	v_fmamk_f32 v54, v117, 0x3f3d2fb0, v75
	v_dual_add_f32 v68, v92, v68 :: v_dual_add_f32 v53, v54, v53
	v_fmamk_f32 v54, v124, 0x3f4c4adb, v76
	v_fmac_f32_e32 v76, 0xbf4c4adb, v124
	s_delay_alu instid0(VALU_DEP_2) | instskip(SKIP_1) | instid1(VALU_DEP_1)
	v_add_f32_e32 v52, v54, v52
	v_fmamk_f32 v54, v123, 0xbf1a4643, v77
	v_dual_add_f32 v53, v54, v53 :: v_dual_fmamk_f32 v54, v132, 0xbf65296c, v78
	s_delay_alu instid0(VALU_DEP_1) | instskip(SKIP_1) | instid1(VALU_DEP_1)
	v_add_f32_e32 v52, v54, v52
	v_fmamk_f32 v54, v129, 0x3ee437d1, v79
	v_dual_add_f32 v53, v54, v53 :: v_dual_fmamk_f32 v54, v139, 0x3f763a35, v80
	v_fmac_f32_e32 v74, 0x3f2c7751, v118
	v_fmac_f32_e32 v80, 0xbf763a35, v139
	s_delay_alu instid0(VALU_DEP_3) | instskip(SKIP_1) | instid1(VALU_DEP_1)
	v_add_f32_e32 v52, v54, v52
	v_fmamk_f32 v54, v137, 0xbe8c1d8e, v81
	v_dual_add_f32 v54, v54, v53 :: v_dual_fmamk_f32 v53, v151, 0xbf7ee86f, v197
	s_delay_alu instid0(VALU_DEP_1) | instskip(SKIP_1) | instid1(VALU_DEP_1)
	v_add_f32_e32 v53, v53, v52
	v_fmamk_f32 v52, v149, 0x3dbcf732, v199
	v_dual_fmac_f32 v197, 0x3f7ee86f, v151 :: v_dual_add_f32 v52, v52, v54
	v_fmamk_f32 v54, v110, 0x3f06c442, v203
	v_fmac_f32_e32 v203, 0xbf06c442, v110
	s_delay_alu instid0(VALU_DEP_2) | instskip(NEXT) | instid1(VALU_DEP_1)
	v_add_f32_e32 v54, v92, v54
	v_dual_add_f32 v54, v55, v54 :: v_dual_fmamk_f32 v55, v109, 0xbf59a7d5, v209
	v_mul_f32_e32 v211, 0x3dbcf732, v165
	v_mul_f32_e32 v165, 0x3f6eb680, v165
	s_delay_alu instid0(VALU_DEP_3) | instskip(NEXT) | instid1(VALU_DEP_1)
	v_add_f32_e32 v55, v91, v55
	v_add_f32_e32 v55, v58, v55
	s_delay_alu instid0(VALU_DEP_4) | instskip(NEXT) | instid1(VALU_DEP_1)
	v_fmamk_f32 v58, v114, 0x3f7ee86f, v211
	v_add_f32_e32 v54, v58, v54
	v_fmamk_f32 v58, v113, 0x3dbcf732, v212
	v_fmac_f32_e32 v211, 0xbf7ee86f, v114
	s_delay_alu instid0(VALU_DEP_2) | instskip(SKIP_2) | instid1(VALU_DEP_2)
	v_add_f32_e32 v55, v58, v55
	v_fmamk_f32 v58, v118, 0xbf4c4adb, v213
	v_fmac_f32_e32 v213, 0x3f4c4adb, v118
	v_add_f32_e32 v54, v58, v54
	v_fmamk_f32 v58, v117, 0xbf1a4643, v214
	s_delay_alu instid0(VALU_DEP_1) | instskip(NEXT) | instid1(VALU_DEP_1)
	v_dual_add_f32 v55, v58, v55 :: v_dual_fmamk_f32 v58, v124, 0x3eb8f4ab, v215
	v_add_f32_e32 v54, v58, v54
	v_fmamk_f32 v58, v123, 0x3f6eb680, v216
	v_fmac_f32_e32 v215, 0xbeb8f4ab, v124
	s_delay_alu instid0(VALU_DEP_2) | instskip(NEXT) | instid1(VALU_DEP_1)
	v_dual_add_f32 v55, v58, v55 :: v_dual_fmamk_f32 v58, v132, 0x3e3c28d5, v217
	v_dual_fmac_f32 v217, 0xbe3c28d5, v132 :: v_dual_add_f32 v54, v58, v54
	v_fmamk_f32 v58, v129, 0xbf7ba420, v218
	s_delay_alu instid0(VALU_DEP_1) | instskip(SKIP_1) | instid1(VALU_DEP_2)
	v_dual_add_f32 v55, v58, v55 :: v_dual_fmamk_f32 v58, v139, 0xbf2c7751, v219
	v_fmac_f32_e32 v78, 0x3f65296c, v132
	v_add_f32_e32 v54, v58, v54
	v_fmamk_f32 v58, v137, 0x3f3d2fb0, v220
	v_fmac_f32_e32 v219, 0x3f2c7751, v139
	s_delay_alu instid0(VALU_DEP_2) | instskip(SKIP_1) | instid1(VALU_DEP_2)
	v_dual_add_f32 v58, v58, v55 :: v_dual_fmamk_f32 v55, v151, 0x3f763a35, v221
	v_fmac_f32_e32 v221, 0xbf763a35, v151
	v_dual_add_f32 v55, v55, v54 :: v_dual_fmamk_f32 v54, v149, 0xbe8c1d8e, v222
	v_fmac_f32_e32 v206, 0x3f65296c, v112
	s_delay_alu instid0(VALU_DEP_2) | instskip(SKIP_4) | instid1(VALU_DEP_4)
	v_add_f32_e32 v54, v54, v58
	v_fmamk_f32 v58, v110, 0x3f4c4adb, v143
	v_dual_fmac_f32 v143, 0xbf4c4adb, v110 :: v_dual_add_f32 v68, v69, v68
	v_fma_f32 v69, 0xbf7ba420, v109, -v70
	v_fma_f32 v70, 0x3f6eb680, v111, -v71
	v_add_f32_e32 v58, v92, v58
	v_fma_f32 v71, 0x3dbcf732, v149, -v199
	s_delay_alu instid0(VALU_DEP_4) | instskip(NEXT) | instid1(VALU_DEP_3)
	v_add_f32_e32 v69, v91, v69
	v_dual_add_f32 v58, v59, v58 :: v_dual_fmamk_f32 v59, v109, 0xbf1a4643, v142
	s_delay_alu instid0(VALU_DEP_2) | instskip(SKIP_2) | instid1(VALU_DEP_4)
	v_add_f32_e32 v69, v70, v69
	v_fma_f32 v70, 0xbf59a7d5, v113, -v73
	v_add_f32_e32 v73, v92, v143
	v_add_f32_e32 v59, v91, v59
	s_delay_alu instid0(VALU_DEP_3) | instskip(SKIP_1) | instid1(VALU_DEP_3)
	v_add_f32_e32 v69, v70, v69
	v_fma_f32 v70, 0x3f3d2fb0, v117, -v75
	v_dual_add_f32 v59, v60, v59 :: v_dual_fmamk_f32 v60, v114, 0x3eb8f4ab, v165
	v_add_f32_e32 v73, v155, v73
	v_fmac_f32_e32 v165, 0xbeb8f4ab, v114
	s_delay_alu instid0(VALU_DEP_4) | instskip(SKIP_4) | instid1(VALU_DEP_4)
	v_add_f32_e32 v69, v70, v69
	v_fma_f32 v70, 0xbf1a4643, v123, -v77
	v_add_f32_e32 v58, v60, v58
	v_fmamk_f32 v60, v113, 0x3f6eb680, v164
	v_add_f32_e32 v73, v165, v73
	v_add_f32_e32 v69, v70, v69
	v_fma_f32 v70, 0x3ee437d1, v129, -v79
	s_delay_alu instid0(VALU_DEP_4) | instskip(SKIP_1) | instid1(VALU_DEP_3)
	v_dual_add_f32 v59, v60, v59 :: v_dual_fmamk_f32 v60, v118, 0x3f06c442, v175
	v_dual_fmac_f32 v175, 0xbf06c442, v118 :: v_dual_add_f32 v68, v72, v68
	v_add_f32_e32 v69, v70, v69
	v_fma_f32 v70, 0xbe8c1d8e, v137, -v81
	s_delay_alu instid0(VALU_DEP_4) | instskip(SKIP_2) | instid1(VALU_DEP_4)
	v_add_f32_e32 v58, v60, v58
	v_fmamk_f32 v60, v117, 0xbf59a7d5, v174
	v_dual_add_f32 v68, v74, v68 :: v_dual_add_f32 v73, v175, v73
	v_add_f32_e32 v70, v70, v69
	v_add_f32_e32 v72, v92, v203
	s_delay_alu instid0(VALU_DEP_4)
	v_add_f32_e32 v59, v60, v59
	v_fmamk_f32 v60, v124, 0xbf7ee86f, v185
	v_add_f32_e32 v68, v76, v68
	v_fmac_f32_e32 v185, 0x3f7ee86f, v124
	v_add_f32_e32 v72, v206, v72
	v_fma_f32 v76, 0x3ee437d1, v149, -v207
	v_add_f32_e32 v58, v60, v58
	v_fmamk_f32 v60, v123, 0x3dbcf732, v184
	v_dual_add_f32 v68, v78, v68 :: v_dual_add_f32 v73, v185, v73
	s_delay_alu instid0(VALU_DEP_2) | instskip(SKIP_1) | instid1(VALU_DEP_3)
	v_dual_add_f32 v72, v211, v72 :: v_dual_add_f32 v59, v60, v59
	v_fmamk_f32 v60, v132, 0x3f2c7751, v193
	v_add_f32_e32 v68, v80, v68
	v_fmac_f32_e32 v193, 0xbf2c7751, v132
	s_delay_alu instid0(VALU_DEP_4) | instskip(NEXT) | instid1(VALU_DEP_4)
	v_add_f32_e32 v72, v213, v72
	v_add_f32_e32 v58, v60, v58
	v_fmamk_f32 v60, v129, 0x3f3d2fb0, v192
	v_dual_add_f32 v69, v197, v68 :: v_dual_add_f32 v68, v71, v70
	v_fma_f32 v70, 0xbf59a7d5, v109, -v209
	s_delay_alu instid0(VALU_DEP_3) | instskip(SKIP_2) | instid1(VALU_DEP_4)
	v_dual_add_f32 v72, v215, v72 :: v_dual_add_f32 v59, v60, v59
	v_fmamk_f32 v60, v139, 0x3e3c28d5, v202
	v_fma_f32 v74, 0x3ee437d1, v111, -v210
	v_dual_add_f32 v70, v91, v70 :: v_dual_add_f32 v73, v193, v73
	s_delay_alu instid0(VALU_DEP_4) | instskip(NEXT) | instid1(VALU_DEP_4)
	v_add_f32_e32 v72, v217, v72
	v_add_f32_e32 v58, v60, v58
	v_fmamk_f32 v60, v137, 0xbf7ba420, v200
	s_delay_alu instid0(VALU_DEP_4) | instskip(NEXT) | instid1(VALU_DEP_4)
	v_add_f32_e32 v70, v74, v70
	v_add_f32_e32 v72, v219, v72
	s_delay_alu instid0(VALU_DEP_3) | instskip(NEXT) | instid1(VALU_DEP_1)
	v_dual_add_f32 v60, v60, v59 :: v_dual_fmamk_f32 v59, v151, 0xbf65296c, v208
	v_dual_add_f32 v59, v59, v58 :: v_dual_fmamk_f32 v58, v149, 0x3ee437d1, v207
	s_delay_alu instid0(VALU_DEP_1) | instskip(SKIP_1) | instid1(VALU_DEP_1)
	v_add_f32_e32 v58, v58, v60
	v_mul_f32_e32 v60, 0xbf763a35, v110
	v_sub_f32_e32 v60, v144, v60
	s_delay_alu instid0(VALU_DEP_1) | instskip(NEXT) | instid1(VALU_DEP_1)
	v_add_f32_e32 v60, v92, v60
	v_dual_add_f32 v60, v61, v60 :: v_dual_mul_f32 v61, 0x3f2c7751, v114
	s_delay_alu instid0(VALU_DEP_1) | instskip(SKIP_1) | instid1(VALU_DEP_2)
	v_sub_f32_e32 v61, v166, v61
	v_fma_f32 v74, 0x3dbcf732, v113, -v212
	v_dual_add_f32 v60, v61, v60 :: v_dual_mul_f32 v61, 0xbe8c1d8e, v109
	s_delay_alu instid0(VALU_DEP_2) | instskip(NEXT) | instid1(VALU_DEP_2)
	v_add_f32_e32 v70, v74, v70
	v_add_f32_e32 v60, v62, v60
	s_delay_alu instid0(VALU_DEP_3) | instskip(NEXT) | instid1(VALU_DEP_1)
	v_add_f32_e32 v61, v61, v140
	v_dual_mul_f32 v62, 0xbe3c28d5, v124 :: v_dual_add_f32 v61, v91, v61
	s_delay_alu instid0(VALU_DEP_1) | instskip(SKIP_1) | instid1(VALU_DEP_3)
	v_sub_f32_e32 v62, v186, v62
	v_fma_f32 v74, 0xbf1a4643, v117, -v214
	v_add_f32_e32 v61, v63, v61
	s_delay_alu instid0(VALU_DEP_3) | instskip(SKIP_1) | instid1(VALU_DEP_2)
	v_dual_mul_f32 v63, 0x3f3d2fb0, v113 :: v_dual_add_f32 v60, v62, v60
	v_mul_f32_e32 v62, 0x3f7ee86f, v132
	v_dual_add_f32 v70, v74, v70 :: v_dual_add_f32 v63, v63, v161
	v_fma_f32 v74, 0x3f6eb680, v123, -v216
	s_delay_alu instid0(VALU_DEP_2) | instskip(NEXT) | instid1(VALU_DEP_1)
	v_dual_sub_f32 v62, v194, v62 :: v_dual_add_f32 v61, v63, v61
	v_dual_mul_f32 v63, 0x3ee437d1, v117 :: v_dual_add_f32 v60, v62, v60
	v_mul_f32_e32 v62, 0xbf7ba420, v123
	s_delay_alu instid0(VALU_DEP_2) | instskip(NEXT) | instid1(VALU_DEP_2)
	v_dual_add_f32 v70, v74, v70 :: v_dual_add_f32 v63, v63, v172
	v_add_f32_e32 v62, v62, v181
	s_delay_alu instid0(VALU_DEP_2) | instskip(SKIP_2) | instid1(VALU_DEP_3)
	v_add_f32_e32 v61, v63, v61
	v_mul_f32_e32 v63, 0xbeb8f4ab, v139
	v_fma_f32 v74, 0xbf7ba420, v129, -v218
	v_add_f32_e32 v61, v62, v61
	s_delay_alu instid0(VALU_DEP_3) | instskip(NEXT) | instid1(VALU_DEP_3)
	v_dual_mul_f32 v62, 0x3dbcf732, v129 :: v_dual_sub_f32 v63, v201, v63
	v_add_f32_e32 v70, v74, v70
	v_fma_f32 v74, 0x3f3d2fb0, v137, -v220
	s_delay_alu instid0(VALU_DEP_3) | instskip(NEXT) | instid1(VALU_DEP_4)
	v_add_f32_e32 v62, v62, v190
	v_dual_add_f32 v60, v63, v60 :: v_dual_mul_f32 v63, 0xbf4c4adb, v151
	s_delay_alu instid0(VALU_DEP_3) | instskip(NEXT) | instid1(VALU_DEP_3)
	v_add_f32_e32 v70, v74, v70
	v_add_f32_e32 v61, v62, v61
	s_delay_alu instid0(VALU_DEP_3) | instskip(SKIP_1) | instid1(VALU_DEP_1)
	v_dual_mul_f32 v62, 0x3f6eb680, v137 :: v_dual_sub_f32 v63, v205, v63
	v_fma_f32 v71, 0xbf1a4643, v109, -v142
	v_dual_add_f32 v62, v62, v198 :: v_dual_add_f32 v71, v91, v71
	s_delay_alu instid0(VALU_DEP_1) | instskip(SKIP_1) | instid1(VALU_DEP_1)
	v_add_f32_e32 v62, v62, v61
	v_mul_f32_e32 v61, 0xbf1a4643, v149
	v_add_f32_e32 v64, v61, v204
	v_add_f32_e32 v61, v63, v60
	v_mul_f32_e32 v63, 0xbe3c28d5, v112
	v_fma_f32 v75, 0xbe8c1d8e, v111, -v154
	s_delay_alu instid0(VALU_DEP_4) | instskip(NEXT) | instid1(VALU_DEP_3)
	v_add_f32_e32 v60, v64, v62
	v_dual_mul_f32 v62, 0xbf7ee86f, v110 :: v_dual_sub_f32 v63, v141, v63
	s_delay_alu instid0(VALU_DEP_3) | instskip(SKIP_1) | instid1(VALU_DEP_3)
	v_dual_mul_f32 v64, 0x3dbcf732, v109 :: v_dual_add_f32 v71, v75, v71
	v_fma_f32 v75, 0x3f6eb680, v113, -v164
	v_sub_f32_e32 v62, v131, v62
	s_delay_alu instid0(VALU_DEP_3) | instskip(NEXT) | instid1(VALU_DEP_2)
	v_add_f32_e32 v64, v64, v127
	v_dual_add_f32 v71, v75, v71 :: v_dual_add_f32 v62, v92, v62
	s_delay_alu instid0(VALU_DEP_2) | instskip(NEXT) | instid1(VALU_DEP_2)
	v_add_f32_e32 v64, v91, v64
	v_add_f32_e32 v62, v63, v62
	v_mul_f32_e32 v63, 0x3f763a35, v114
	s_delay_alu instid0(VALU_DEP_1) | instskip(NEXT) | instid1(VALU_DEP_1)
	v_sub_f32_e32 v63, v153, v63
	v_add_f32_e32 v62, v63, v62
	v_mul_f32_e32 v63, 0x3eb8f4ab, v118
	s_delay_alu instid0(VALU_DEP_1) | instskip(NEXT) | instid1(VALU_DEP_1)
	v_sub_f32_e32 v63, v163, v63
	v_dual_add_f32 v62, v63, v62 :: v_dual_mul_f32 v63, 0xbf7ba420, v111
	v_fmac_f32_e32 v202, 0xbe3c28d5, v139
	s_delay_alu instid0(VALU_DEP_2) | instskip(SKIP_1) | instid1(VALU_DEP_3)
	v_dual_add_f32 v62, v65, v62 :: v_dual_add_f32 v63, v63, v136
	v_mul_f32_e32 v65, 0xbf06c442, v132
	v_add_f32_e32 v73, v202, v73
	s_delay_alu instid0(VALU_DEP_3) | instskip(NEXT) | instid1(VALU_DEP_3)
	v_dual_add_f32 v63, v63, v64 :: v_dual_mul_f32 v64, 0xbe8c1d8e, v113
	v_sub_f32_e32 v65, v183, v65
	v_fma_f32 v75, 0xbf59a7d5, v117, -v174
	s_delay_alu instid0(VALU_DEP_3) | instskip(NEXT) | instid1(VALU_DEP_3)
	v_add_f32_e32 v64, v64, v148
	v_dual_add_f32 v62, v65, v62 :: v_dual_mul_f32 v65, 0x3f4c4adb, v139
	s_delay_alu instid0(VALU_DEP_3) | instskip(SKIP_1) | instid1(VALU_DEP_4)
	v_add_f32_e32 v71, v75, v71
	v_fma_f32 v75, 0x3dbcf732, v123, -v184
	v_dual_add_f32 v63, v64, v63 :: v_dual_mul_f32 v64, 0x3f6eb680, v117
	s_delay_alu instid0(VALU_DEP_4) | instskip(NEXT) | instid1(VALU_DEP_2)
	v_sub_f32_e32 v65, v191, v65
	v_dual_add_f32 v71, v75, v71 :: v_dual_add_f32 v64, v64, v160
	s_delay_alu instid0(VALU_DEP_2) | instskip(NEXT) | instid1(VALU_DEP_2)
	v_dual_add_f32 v62, v65, v62 :: v_dual_mul_f32 v65, 0x3f2c7751, v151
	v_add_f32_e32 v63, v64, v63
	s_delay_alu instid0(VALU_DEP_2) | instskip(NEXT) | instid1(VALU_DEP_1)
	v_dual_mul_f32 v64, 0x3ee437d1, v123 :: v_dual_sub_f32 v65, v196, v65
	v_add_f32_e32 v64, v64, v170
	s_delay_alu instid0(VALU_DEP_1) | instskip(SKIP_1) | instid1(VALU_DEP_1)
	v_dual_add_f32 v63, v64, v63 :: v_dual_mul_f32 v64, 0xbf59a7d5, v129
	v_fma_f32 v75, 0x3f3d2fb0, v129, -v192
	v_dual_add_f32 v64, v64, v180 :: v_dual_add_f32 v71, v75, v71
	s_delay_alu instid0(VALU_DEP_1) | instskip(NEXT) | instid1(VALU_DEP_1)
	v_dual_add_f32 v63, v64, v63 :: v_dual_mul_f32 v64, 0xbf1a4643, v137
	v_add_f32_e32 v64, v64, v188
	s_delay_alu instid0(VALU_DEP_1) | instskip(NEXT) | instid1(VALU_DEP_1)
	v_dual_add_f32 v64, v64, v63 :: v_dual_mul_f32 v63, 0x3f3d2fb0, v149
	v_dual_add_f32 v66, v63, v195 :: v_dual_add_f32 v63, v65, v62
	v_mul_f32_e32 v65, 0xbf4c4adb, v112
	v_fma_f32 v75, 0xbf7ba420, v137, -v200
	s_delay_alu instid0(VALU_DEP_3) | instskip(NEXT) | instid1(VALU_DEP_3)
	v_add_f32_e32 v62, v66, v64
	v_dual_mul_f32 v64, 0xbf65296c, v110 :: v_dual_sub_f32 v65, v130, v65
	v_mul_f32_e32 v66, 0xbf1a4643, v111
	s_delay_alu instid0(VALU_DEP_4) | instskip(SKIP_1) | instid1(VALU_DEP_4)
	v_add_f32_e32 v74, v75, v71
	v_mul_lo_u16 v71, v102, 17
	v_sub_f32_e32 v64, v121, v64
	v_fma_f32 v75, 0xbe8c1d8e, v149, -v222
	s_delay_alu instid0(VALU_DEP_3) | instskip(NEXT) | instid1(VALU_DEP_3)
	v_dual_add_f32 v66, v66, v126 :: v_dual_and_b32 v71, 0xffff, v71
	v_add_f32_e32 v64, v92, v64
	s_delay_alu instid0(VALU_DEP_3) | instskip(NEXT) | instid1(VALU_DEP_3)
	v_add_f32_e32 v70, v75, v70
	v_lshl_add_u32 v77, v71, 3, v103
	s_delay_alu instid0(VALU_DEP_3) | instskip(SKIP_1) | instid1(VALU_DEP_2)
	v_dual_add_f32 v64, v65, v64 :: v_dual_mul_f32 v65, 0x3e3c28d5, v114
	v_dual_add_f32 v71, v221, v72 :: v_dual_add_f32 v72, v76, v74
	v_dual_sub_f32 v65, v138, v65 :: v_dual_fmac_f32 v208, 0x3f65296c, v151
	s_delay_alu instid0(VALU_DEP_1) | instskip(NEXT) | instid1(VALU_DEP_2)
	v_dual_add_f32 v64, v65, v64 :: v_dual_mul_f32 v65, 0x3f763a35, v118
	v_add_f32_e32 v73, v208, v73
	s_delay_alu instid0(VALU_DEP_2) | instskip(NEXT) | instid1(VALU_DEP_1)
	v_sub_f32_e32 v65, v150, v65
	v_add_f32_e32 v64, v65, v64
	v_mul_f32_e32 v65, 0x3f2c7751, v124
	s_delay_alu instid0(VALU_DEP_1) | instskip(NEXT) | instid1(VALU_DEP_1)
	v_sub_f32_e32 v65, v162, v65
	v_dual_add_f32 v64, v65, v64 :: v_dual_mul_f32 v65, 0x3ee437d1, v109
	s_delay_alu instid0(VALU_DEP_1) | instskip(NEXT) | instid1(VALU_DEP_2)
	v_dual_add_f32 v64, v67, v64 :: v_dual_mul_f32 v67, 0xbf7ee86f, v139
	v_add_f32_e32 v65, v65, v119
	s_delay_alu instid0(VALU_DEP_2) | instskip(NEXT) | instid1(VALU_DEP_2)
	v_sub_f32_e32 v67, v182, v67
	v_add_f32_e32 v65, v91, v65
	s_delay_alu instid0(VALU_DEP_1) | instskip(SKIP_1) | instid1(VALU_DEP_1)
	v_dual_add_f32 v64, v67, v64 :: v_dual_add_f32 v65, v66, v65
	v_mul_f32_e32 v66, 0xbf7ba420, v113
	v_dual_mul_f32 v67, 0xbf06c442, v151 :: v_dual_add_f32 v66, v66, v134
	s_delay_alu instid0(VALU_DEP_1) | instskip(NEXT) | instid1(VALU_DEP_2)
	v_sub_f32_e32 v67, v189, v67
	v_add_f32_e32 v65, v66, v65
	v_mul_f32_e32 v66, 0xbe8c1d8e, v117
	s_delay_alu instid0(VALU_DEP_1) | instskip(NEXT) | instid1(VALU_DEP_1)
	v_add_f32_e32 v66, v66, v146
	v_dual_add_f32 v65, v66, v65 :: v_dual_mul_f32 v66, 0x3f3d2fb0, v123
	s_delay_alu instid0(VALU_DEP_1) | instskip(NEXT) | instid1(VALU_DEP_1)
	v_add_f32_e32 v66, v66, v159
	v_add_f32_e32 v65, v66, v65
	v_mul_f32_e32 v66, 0x3f6eb680, v129
	s_delay_alu instid0(VALU_DEP_1) | instskip(NEXT) | instid1(VALU_DEP_1)
	v_add_f32_e32 v66, v66, v169
	v_add_f32_e32 v65, v66, v65
	v_mul_f32_e32 v66, 0x3dbcf732, v137
	;; [unrolled: 4-line block ×3, first 2 shown]
	s_delay_alu instid0(VALU_DEP_1) | instskip(SKIP_1) | instid1(VALU_DEP_2)
	v_add_f32_e32 v119, v65, v187
	v_add_f32_e32 v65, v67, v64
	v_dual_mul_f32 v67, 0x3f3d2fb0, v109 :: v_dual_add_f32 v64, v119, v66
	s_delay_alu instid0(VALU_DEP_1) | instskip(NEXT) | instid1(VALU_DEP_1)
	v_dual_mul_f32 v66, 0xbf2c7751, v110 :: v_dual_add_f32 v67, v67, v115
	v_dual_mul_f32 v115, 0xbf7ee86f, v112 :: v_dual_sub_f32 v66, v116, v66
	v_mul_f32_e32 v116, 0x3dbcf732, v111
	s_delay_alu instid0(VALU_DEP_2) | instskip(NEXT) | instid1(VALU_DEP_3)
	v_sub_f32_e32 v115, v122, v115
	v_dual_add_f32 v67, v91, v67 :: v_dual_add_f32 v66, v92, v66
	s_delay_alu instid0(VALU_DEP_3) | instskip(NEXT) | instid1(VALU_DEP_2)
	v_add_f32_e32 v116, v116, v120
	v_add_f32_e32 v66, v115, v66
	v_mul_f32_e32 v115, 0xbf4c4adb, v114
	s_delay_alu instid0(VALU_DEP_3) | instskip(NEXT) | instid1(VALU_DEP_2)
	v_dual_add_f32 v67, v116, v67 :: v_dual_mul_f32 v116, 0xbf1a4643, v113
	v_sub_f32_e32 v115, v128, v115
	s_delay_alu instid0(VALU_DEP_2) | instskip(NEXT) | instid1(VALU_DEP_2)
	v_add_f32_e32 v116, v116, v125
	v_add_f32_e32 v66, v115, v66
	v_mul_f32_e32 v115, 0xbe3c28d5, v118
	s_delay_alu instid0(VALU_DEP_3) | instskip(NEXT) | instid1(VALU_DEP_1)
	v_dual_add_f32 v67, v116, v67 :: v_dual_mul_f32 v116, 0xbf7ba420, v117
	v_dual_sub_f32 v115, v135, v115 :: v_dual_add_f32 v116, v116, v133
	s_delay_alu instid0(VALU_DEP_1) | instskip(NEXT) | instid1(VALU_DEP_2)
	v_dual_add_f32 v66, v115, v66 :: v_dual_mul_f32 v115, 0x3f06c442, v124
	v_add_f32_e32 v67, v116, v67
	v_mul_f32_e32 v116, 0xbf59a7d5, v123
	s_delay_alu instid0(VALU_DEP_1) | instskip(NEXT) | instid1(VALU_DEP_1)
	v_dual_sub_f32 v115, v147, v115 :: v_dual_add_f32 v116, v116, v145
	v_dual_add_f32 v66, v115, v66 :: v_dual_mul_f32 v115, 0x3f763a35, v132
	s_delay_alu instid0(VALU_DEP_2) | instskip(NEXT) | instid1(VALU_DEP_1)
	v_dual_add_f32 v67, v116, v67 :: v_dual_mul_f32 v116, 0xbe8c1d8e, v129
	v_dual_sub_f32 v115, v158, v115 :: v_dual_add_f32 v116, v116, v157
	s_delay_alu instid0(VALU_DEP_1) | instskip(NEXT) | instid1(VALU_DEP_2)
	v_dual_add_f32 v66, v115, v66 :: v_dual_mul_f32 v115, 0x3f65296c, v139
	v_dual_add_f32 v67, v116, v67 :: v_dual_mul_f32 v116, 0x3ee437d1, v137
	s_delay_alu instid0(VALU_DEP_2) | instskip(NEXT) | instid1(VALU_DEP_2)
	v_sub_f32_e32 v115, v168, v115
	v_add_f32_e32 v116, v116, v167
	s_delay_alu instid0(VALU_DEP_2) | instskip(NEXT) | instid1(VALU_DEP_2)
	v_dual_add_f32 v66, v115, v66 :: v_dual_mul_f32 v115, 0x3eb8f4ab, v151
	v_dual_add_f32 v116, v116, v67 :: v_dual_mul_f32 v67, 0x3f6eb680, v149
	s_delay_alu instid0(VALU_DEP_2) | instskip(NEXT) | instid1(VALU_DEP_2)
	v_sub_f32_e32 v115, v178, v115
	v_add_f32_e32 v119, v67, v177
	s_delay_alu instid0(VALU_DEP_2) | instskip(NEXT) | instid1(VALU_DEP_2)
	v_add_f32_e32 v67, v115, v66
	v_add_f32_e32 v66, v119, v116
	ds_store_2addr_b64 v77, v[48:49], v[50:51] offset1:1
	ds_store_2addr_b64 v77, v[66:67], v[64:65] offset0:2 offset1:3
	ds_store_2addr_b64 v77, v[62:63], v[60:61] offset0:4 offset1:5
	ds_store_2addr_b64 v77, v[58:59], v[54:55] offset0:6 offset1:7
	ds_store_2addr_b64 v77, v[52:53], v[68:69] offset0:8 offset1:9
	ds_store_2addr_b64 v77, v[70:71], v[72:73] offset0:10 offset1:11
	ds_store_2addr_b64 v77, v[93:94], v[99:100] offset0:12 offset1:13
	ds_store_2addr_b64 v77, v[95:96], v[97:98] offset0:14 offset1:15
	ds_store_b64 v77, v[56:57] offset:128
.LBB0_17:
	s_wait_alu 0xfffe
	s_or_b32 exec_lo, exec_lo, s1
	v_add_nc_u32_e32 v52, 0x400, v104
	v_add_nc_u32_e32 v53, 0xc00, v104
	v_add_nc_u32_e32 v54, 0x1000, v104
	v_add_nc_u32_e32 v55, 0x1800, v104
	v_add_nc_u32_e32 v58, 0x2000, v104
	global_wb scope:SCOPE_SE
	s_wait_dscnt 0x0
	s_barrier_signal -1
	s_barrier_wait -1
	global_inv scope:SCOPE_SE
	ds_load_2addr_b64 v[48:51], v104 offset1:102
	ds_load_2addr_b64 v[74:77], v52 offset0:93 offset1:195
	ds_load_2addr_b64 v[70:73], v53 offset0:58 offset1:160
	ds_load_2addr_b64 v[66:69], v54 offset0:151 offset1:253
	ds_load_2addr_b64 v[62:65], v55 offset0:116 offset1:218
	ds_load_2addr_b64 v[58:61], v58 offset0:81 offset1:183
	s_and_saveexec_b32 s1, s0
	s_cbranch_execz .LBB0_19
; %bb.18:
	v_add_nc_u32_e32 v52, 0xd00, v104
	v_add_nc_u32_e32 v53, 0x1b00, v104
	ds_load_2addr_b64 v[78:81], v52 offset0:9 offset1:230
	ds_load_2addr_b64 v[54:57], v53 offset0:3 offset1:224
	ds_load_b64 v[93:94], v104 offset:1632
	ds_load_b64 v[89:90], v104 offset:10472
	s_wait_dscnt 0x3
	v_dual_mov_b32 v100, v79 :: v_dual_mov_b32 v99, v78
	v_dual_mov_b32 v95, v80 :: v_dual_mov_b32 v96, v81
	s_wait_dscnt 0x2
	v_dual_mov_b32 v97, v54 :: v_dual_mov_b32 v98, v55
.LBB0_19:
	s_wait_alu 0xfffe
	s_or_b32 exec_lo, exec_lo, s1
	s_wait_dscnt 0x4
	v_mul_f32_e32 v52, v21, v75
	s_wait_dscnt 0x3
	v_mul_f32_e32 v53, v23, v71
	v_mul_f32_e32 v23, v23, v70
	;; [unrolled: 1-line block ×3, first 2 shown]
	global_wb scope:SCOPE_SE
	s_wait_dscnt 0x0
	v_fmac_f32_e32 v52, v20, v74
	v_fmac_f32_e32 v53, v22, v70
	v_fma_f32 v22, v22, v71, -v23
	v_dual_mul_f32 v23, v19, v63 :: v_dual_mul_f32 v54, v88, v58
	v_mul_f32_e32 v19, v19, v62
	s_barrier_signal -1
	s_barrier_wait -1
	s_delay_alu instid0(VALU_DEP_2)
	v_fmac_f32_e32 v23, v18, v62
	global_inv scope:SCOPE_SE
	v_fma_f32 v18, v18, v63, -v19
	v_fma_f32 v19, v87, v59, -v54
	v_mul_f32_e32 v54, v15, v73
	v_fma_f32 v20, v20, v75, -v21
	v_mul_f32_e32 v21, v17, v67
	v_mul_f32_e32 v17, v17, v66
	;; [unrolled: 1-line block ×4, first 2 shown]
	v_fmac_f32_e32 v54, v14, v72
	v_mul_f32_e32 v15, v15, v72
	s_delay_alu instid0(VALU_DEP_4) | instskip(NEXT) | instid1(VALU_DEP_4)
	v_fmac_f32_e32 v63, v10, v64
	v_fma_f32 v64, v10, v65, -v11
	v_add_f32_e32 v10, v48, v53
	v_fmac_f32_e32 v21, v16, v66
	v_fma_f32 v16, v16, v67, -v17
	v_mul_f32_e32 v17, v88, v59
	v_mul_f32_e32 v59, v9, v69
	;; [unrolled: 1-line block ×4, first 2 shown]
	v_fma_f32 v62, v14, v73, -v15
	s_delay_alu instid0(VALU_DEP_4) | instskip(NEXT) | instid1(VALU_DEP_4)
	v_dual_add_f32 v14, v10, v23 :: v_dual_fmac_f32 v59, v8, v68
	v_fma_f32 v66, v8, v69, -v9
	v_dual_mul_f32 v8, v86, v60 :: v_dual_add_f32 v9, v53, v23
	v_fmac_f32_e32 v67, v85, v60
	v_add_f32_e32 v10, v49, v22
	v_mul_f32_e32 v55, v13, v77
	s_delay_alu instid0(VALU_DEP_4)
	v_fma_f32 v60, v85, v61, -v8
	v_add_f32_e32 v8, v22, v18
	v_fmac_f32_e32 v17, v87, v58
	v_fma_f32 v15, -0.5, v9, v48
	v_sub_f32_e32 v9, v22, v18
	v_mul_f32_e32 v13, v13, v76
	v_fma_f32 v22, -0.5, v8, v49
	v_add_f32_e32 v48, v10, v18
	v_add_f32_e32 v10, v21, v17
	v_sub_f32_e32 v8, v53, v23
	v_fmamk_f32 v23, v9, 0xbf5db3d7, v15
	v_fmac_f32_e32 v15, 0x3f5db3d7, v9
	v_add_f32_e32 v9, v16, v19
	v_fmac_f32_e32 v55, v12, v76
	v_fma_f32 v58, v12, v77, -v13
	v_add_f32_e32 v11, v20, v16
	v_add_f32_e32 v12, v52, v21
	v_fmac_f32_e32 v20, -0.5, v9
	v_dual_sub_f32 v9, v21, v17 :: v_dual_fmac_f32 v52, -0.5, v10
	v_sub_f32_e32 v10, v16, v19
	s_delay_alu instid0(VALU_DEP_4)
	v_add_f32_e32 v16, v12, v17
	v_fmamk_f32 v49, v8, 0x3f5db3d7, v22
	v_fmac_f32_e32 v22, 0xbf5db3d7, v8
	v_fmamk_f32 v8, v9, 0x3f5db3d7, v20
	v_fmac_f32_e32 v20, 0xbf5db3d7, v9
	;; [unrolled: 2-line block ×3, first 2 shown]
	s_delay_alu instid0(VALU_DEP_4) | instskip(NEXT) | instid1(VALU_DEP_4)
	v_mul_f32_e32 v17, 0xbf5db3d7, v8
	v_mul_f32_e32 v18, 0xbf5db3d7, v20
	v_mul_f32_e32 v20, -0.5, v20
	v_mul_f32_e32 v21, 0.5, v8
	s_delay_alu instid0(VALU_DEP_4) | instskip(NEXT) | instid1(VALU_DEP_4)
	v_dual_add_f32 v8, v14, v16 :: v_dual_fmac_f32 v17, 0.5, v9
	v_fmac_f32_e32 v18, -0.5, v52
	s_delay_alu instid0(VALU_DEP_4) | instskip(NEXT) | instid1(VALU_DEP_4)
	v_fmac_f32_e32 v20, 0x3f5db3d7, v52
	v_dual_sub_f32 v14, v14, v16 :: v_dual_fmac_f32 v21, 0x3f5db3d7, v9
	s_delay_alu instid0(VALU_DEP_4) | instskip(SKIP_1) | instid1(VALU_DEP_4)
	v_sub_f32_e32 v16, v23, v17
	v_add_f32_e32 v19, v11, v19
	v_dual_add_f32 v12, v15, v18 :: v_dual_add_f32 v13, v22, v20
	s_delay_alu instid0(VALU_DEP_4) | instskip(NEXT) | instid1(VALU_DEP_3)
	v_dual_sub_f32 v18, v15, v18 :: v_dual_add_f32 v11, v49, v21
	v_add_f32_e32 v9, v48, v19
	v_sub_f32_e32 v15, v48, v19
	v_sub_f32_e32 v19, v22, v20
	;; [unrolled: 1-line block ×3, first 2 shown]
	v_dual_add_f32 v10, v23, v17 :: v_dual_add_f32 v23, v54, v63
	v_dual_sub_f32 v17, v49, v21 :: v_dual_add_f32 v48, v55, v59
	v_add_f32_e32 v21, v50, v54
	v_add_f32_e32 v20, v62, v64
	s_delay_alu instid0(VALU_DEP_4) | instskip(NEXT) | instid1(VALU_DEP_3)
	v_fma_f32 v50, -0.5, v23, v50
	v_dual_add_f32 v23, v58, v66 :: v_dual_add_f32 v52, v21, v63
	v_add_f32_e32 v21, v51, v62
	s_delay_alu instid0(VALU_DEP_3) | instskip(SKIP_4) | instid1(VALU_DEP_3)
	v_fmamk_f32 v53, v22, 0xbf5db3d7, v50
	v_fmac_f32_e32 v50, 0x3f5db3d7, v22
	v_add_f32_e32 v22, v66, v60
	v_dual_fmac_f32 v51, -0.5, v20 :: v_dual_sub_f32 v20, v54, v63
	v_dual_add_f32 v54, v48, v67 :: v_dual_add_f32 v61, v21, v64
	v_fmac_f32_e32 v58, -0.5, v22
	v_sub_f32_e32 v22, v59, v67
	s_delay_alu instid0(VALU_DEP_4) | instskip(SKIP_1) | instid1(VALU_DEP_3)
	v_fmamk_f32 v62, v20, 0x3f5db3d7, v51
	v_fmac_f32_e32 v51, 0xbf5db3d7, v20
	v_fmamk_f32 v20, v22, 0x3f5db3d7, v58
	v_fmac_f32_e32 v58, 0xbf5db3d7, v22
	s_delay_alu instid0(VALU_DEP_2) | instskip(SKIP_2) | instid1(VALU_DEP_4)
	v_dual_mul_f32 v64, 0.5, v20 :: v_dual_add_f32 v21, v59, v67
	v_dual_mul_f32 v59, 0xbf5db3d7, v20 :: v_dual_add_f32 v20, v52, v54
	v_sub_f32_e32 v52, v52, v54
	v_mul_f32_e32 v63, 0xbf5db3d7, v58
	s_delay_alu instid0(VALU_DEP_4) | instskip(SKIP_1) | instid1(VALU_DEP_1)
	v_fmac_f32_e32 v55, -0.5, v21
	v_dual_sub_f32 v21, v66, v60 :: v_dual_mul_f32 v58, -0.5, v58
	v_fmamk_f32 v22, v21, 0xbf5db3d7, v55
	s_delay_alu instid0(VALU_DEP_1) | instskip(SKIP_1) | instid1(VALU_DEP_1)
	v_fmac_f32_e32 v59, 0.5, v22
	v_dual_fmac_f32 v55, 0x3f5db3d7, v21 :: v_dual_fmac_f32 v64, 0x3f5db3d7, v22
	v_fmac_f32_e32 v58, 0x3f5db3d7, v55
	v_add_f32_e32 v60, v23, v60
	s_delay_alu instid0(VALU_DEP_4) | instskip(SKIP_2) | instid1(VALU_DEP_4)
	v_sub_f32_e32 v54, v53, v59
	v_fmac_f32_e32 v63, -0.5, v55
	v_dual_add_f32 v22, v53, v59 :: v_dual_add_f32 v23, v62, v64
	v_add_f32_e32 v21, v61, v60
	s_delay_alu instid0(VALU_DEP_3)
	v_dual_sub_f32 v53, v61, v60 :: v_dual_add_f32 v48, v50, v63
	v_dual_add_f32 v49, v51, v58 :: v_dual_sub_f32 v50, v50, v63
	v_sub_f32_e32 v55, v62, v64
	v_sub_f32_e32 v51, v51, v58
	ds_store_2addr_b64 v108, v[8:9], v[10:11] offset1:17
	ds_store_2addr_b64 v108, v[12:13], v[14:15] offset0:34 offset1:51
	ds_store_2addr_b64 v108, v[16:17], v[18:19] offset0:68 offset1:85
	ds_store_2addr_b64 v107, v[20:21], v[22:23] offset1:17
	ds_store_2addr_b64 v107, v[48:49], v[52:53] offset0:34 offset1:51
	ds_store_2addr_b64 v107, v[54:55], v[50:51] offset0:68 offset1:85
	s_and_saveexec_b32 s1, s0
	s_cbranch_execz .LBB0_21
; %bb.20:
	v_mul_f32_e32 v8, v7, v95
	v_dual_mul_f32 v9, v3, v56 :: v_dual_mul_f32 v10, v1, v98
	v_dual_mul_f32 v1, v1, v97 :: v_dual_mul_f32 v12, v84, v90
	v_mul_f32_e32 v13, v5, v99
	s_delay_alu instid0(VALU_DEP_3) | instskip(NEXT) | instid1(VALU_DEP_3)
	v_dual_mul_f32 v5, v5, v100 :: v_dual_fmac_f32 v10, v0, v97
	v_fma_f32 v14, v0, v98, -v1
	s_delay_alu instid0(VALU_DEP_4)
	v_fmac_f32_e32 v12, v83, v89
	v_mul_f32_e32 v11, v84, v89
	v_fma_f32 v8, v6, v96, -v8
	v_fma_f32 v9, v2, v57, -v9
	;; [unrolled: 1-line block ×3, first 2 shown]
	v_mul_f32_e32 v3, v3, v57
	v_dual_fmac_f32 v5, v4, v99 :: v_dual_add_f32 v4, v10, v12
	v_fma_f32 v11, v83, v90, -v11
	v_add_f32_e32 v1, v8, v9
	s_delay_alu instid0(VALU_DEP_4) | instskip(NEXT) | instid1(VALU_DEP_4)
	v_fmac_f32_e32 v3, v2, v56
	v_fma_f32 v2, -0.5, v4, v5
	s_delay_alu instid0(VALU_DEP_4) | instskip(SKIP_3) | instid1(VALU_DEP_4)
	v_dual_sub_f32 v4, v14, v11 :: v_dual_mul_f32 v7, v7, v96
	v_add_f32_e32 v13, v14, v11
	v_sub_f32_e32 v15, v10, v12
	v_fma_f32 v16, -0.5, v1, v94
	v_dual_fmamk_f32 v18, v4, 0x3f5db3d7, v2 :: v_dual_fmac_f32 v7, v6, v95
	v_fmac_f32_e32 v2, 0xbf5db3d7, v4
	v_fma_f32 v13, -0.5, v13, v0
	v_add_f32_e32 v4, v94, v8
	s_delay_alu instid0(VALU_DEP_4) | instskip(SKIP_1) | instid1(VALU_DEP_2)
	v_dual_sub_f32 v8, v8, v9 :: v_dual_sub_f32 v17, v7, v3
	v_add_f32_e32 v0, v0, v14
	v_fmamk_f32 v20, v17, 0xbf5db3d7, v16
	s_delay_alu instid0(VALU_DEP_2) | instskip(NEXT) | instid1(VALU_DEP_1)
	v_dual_fmamk_f32 v6, v15, 0xbf5db3d7, v13 :: v_dual_add_f32 v11, v0, v11
	v_dual_add_f32 v0, v93, v7 :: v_dual_mul_f32 v19, -0.5, v6
	s_delay_alu instid0(VALU_DEP_1) | instskip(NEXT) | instid1(VALU_DEP_1)
	v_fmac_f32_e32 v19, 0x3f5db3d7, v18
	v_dual_sub_f32 v1, v20, v19 :: v_dual_mul_f32 v6, 0xbf5db3d7, v6
	v_dual_fmac_f32 v16, 0x3f5db3d7, v17 :: v_dual_fmac_f32 v13, 0x3f5db3d7, v15
	s_delay_alu instid0(VALU_DEP_2) | instskip(SKIP_1) | instid1(VALU_DEP_2)
	v_dual_add_f32 v15, v7, v3 :: v_dual_fmac_f32 v6, -0.5, v18
	v_lshl_add_u32 v18, v106, 3, v103
	v_fma_f32 v14, -0.5, v15, v93
	s_delay_alu instid0(VALU_DEP_1) | instskip(SKIP_3) | instid1(VALU_DEP_2)
	v_fmamk_f32 v21, v8, 0x3f5db3d7, v14
	v_dual_add_f32 v15, v4, v9 :: v_dual_add_f32 v4, v5, v10
	v_dual_mul_f32 v17, 0.5, v13 :: v_dual_fmac_f32 v14, 0xbf5db3d7, v8
	v_dual_mul_f32 v13, 0xbf5db3d7, v13 :: v_dual_add_f32 v10, v0, v3
	v_dual_add_f32 v12, v4, v12 :: v_dual_fmac_f32 v17, 0x3f5db3d7, v2
	s_delay_alu instid0(VALU_DEP_1) | instskip(NEXT) | instid1(VALU_DEP_2)
	v_dual_fmac_f32 v13, 0.5, v2 :: v_dual_sub_f32 v4, v10, v12
	v_dual_add_f32 v10, v10, v12 :: v_dual_sub_f32 v3, v16, v17
	v_add_nc_u32_e32 v12, 0x2000, v18
	v_sub_f32_e32 v0, v21, v6
	s_delay_alu instid0(VALU_DEP_4)
	v_dual_sub_f32 v2, v14, v13 :: v_dual_sub_f32 v5, v15, v11
	v_add_f32_e32 v8, v14, v13
	v_add_f32_e32 v9, v16, v17
	;; [unrolled: 1-line block ×3, first 2 shown]
	v_dual_add_f32 v7, v20, v19 :: v_dual_add_f32 v6, v21, v6
	v_add_nc_u32_e32 v13, 0x2800, v18
	ds_store_2addr_b64 v12, v[10:11], v[8:9] offset0:200 offset1:217
	ds_store_2addr_b64 v12, v[6:7], v[4:5] offset0:234 offset1:251
	;; [unrolled: 1-line block ×3, first 2 shown]
.LBB0_21:
	s_wait_alu 0xfffe
	s_or_b32 exec_lo, exec_lo, s1
	global_wb scope:SCOPE_SE
	s_wait_dscnt 0x0
	s_barrier_signal -1
	s_barrier_wait -1
	global_inv scope:SCOPE_SE
	ds_load_2addr_b64 v[8:11], v104 offset1:102
	v_add_nc_u32_e32 v0, 0x400, v104
	v_add_nc_u32_e32 v4, 0x800, v104
	s_wait_dscnt 0x0
	v_dual_mul_f32 v54, v45, v11 :: v_dual_add_nc_u32 v5, 0x1800, v104
	v_mul_f32_e32 v7, v45, v10
	ds_load_2addr_b64 v[0:3], v0 offset0:76 offset1:178
	ds_load_2addr_b64 v[12:15], v4 offset0:152 offset1:254
	v_add_nc_u32_e32 v4, 0x1000, v104
	v_add_nc_u32_e32 v6, 0x1c00, v104
	ds_load_b64 v[52:53], v104 offset:9792
	ds_load_2addr_b64 v[16:19], v4 offset0:100 offset1:202
	ds_load_2addr_b64 v[20:23], v5 offset0:48 offset1:150
	;; [unrolled: 1-line block ×3, first 2 shown]
	v_fmac_f32_e32 v54, v44, v10
	v_fma_f32 v10, v44, v11, -v7
	s_wait_dscnt 0x5
	v_mul_f32_e32 v11, v47, v1
	s_wait_dscnt 0x4
	v_mul_f32_e32 v7, v43, v12
	v_mul_f32_e32 v4, v47, v0
	;; [unrolled: 1-line block ×4, first 2 shown]
	v_fmac_f32_e32 v11, v46, v0
	v_dual_mul_f32 v41, v43, v13 :: v_dual_mul_f32 v0, v33, v14
	v_mul_f32_e32 v6, v33, v15
	v_fma_f32 v43, v46, v1, -v4
	v_add_f32_e32 v1, v8, v54
	s_delay_alu instid0(VALU_DEP_4)
	v_fmac_f32_e32 v41, v42, v12
	v_fma_f32 v12, v42, v13, -v7
	s_wait_dscnt 0x1
	v_mul_f32_e32 v13, v27, v21
	v_fma_f32 v7, v32, v15, -v0
	v_mul_f32_e32 v0, v35, v16
	v_fmac_f32_e32 v44, v40, v2
	v_fma_f32 v40, v40, v3, -v5
	v_dual_mul_f32 v3, v25, v19 :: v_dual_mul_f32 v2, v35, v17
	v_add_f32_e32 v5, v9, v10
	v_fma_f32 v4, v34, v17, -v0
	v_dual_add_f32 v0, v1, v11 :: v_dual_fmac_f32 v13, v26, v20
	s_delay_alu instid0(VALU_DEP_3) | instskip(NEXT) | instid1(VALU_DEP_2)
	v_dual_fmac_f32 v6, v32, v14 :: v_dual_add_f32 v1, v5, v43
	v_dual_mul_f32 v15, v37, v23 :: v_dual_add_f32 v0, v0, v44
	v_dual_fmac_f32 v2, v34, v16 :: v_dual_fmac_f32 v3, v24, v18
	s_delay_alu instid0(VALU_DEP_3) | instskip(NEXT) | instid1(VALU_DEP_3)
	v_add_f32_e32 v1, v1, v40
	v_dual_mul_f32 v5, v25, v18 :: v_dual_add_f32 v0, v0, v41
	s_wait_dscnt 0x0
	v_dual_mul_f32 v16, v37, v22 :: v_dual_mul_f32 v17, v39, v49
	s_delay_alu instid0(VALU_DEP_3) | instskip(NEXT) | instid1(VALU_DEP_3)
	v_add_f32_e32 v1, v1, v12
	v_fma_f32 v5, v24, v19, -v5
	v_add_f32_e32 v0, v0, v6
	v_dual_mul_f32 v14, v27, v20 :: v_dual_fmac_f32 v15, v36, v22
	s_delay_alu instid0(VALU_DEP_4) | instskip(NEXT) | instid1(VALU_DEP_3)
	v_dual_mul_f32 v18, v39, v48 :: v_dual_add_f32 v1, v1, v7
	v_add_f32_e32 v0, v0, v2
	s_delay_alu instid0(VALU_DEP_3)
	v_fma_f32 v14, v26, v21, -v14
	v_fma_f32 v16, v36, v23, -v16
	v_dual_mul_f32 v19, v29, v51 :: v_dual_mul_f32 v20, v31, v52
	v_add_f32_e32 v1, v1, v4
	v_dual_fmac_f32 v17, v38, v48 :: v_dual_add_f32 v0, v0, v3
	v_fma_f32 v18, v38, v49, -v18
	v_dual_mul_f32 v21, v31, v53 :: v_dual_mul_f32 v22, v29, v50
	v_fma_f32 v20, v30, v53, -v20
	s_delay_alu instid0(VALU_DEP_4) | instskip(SKIP_1) | instid1(VALU_DEP_4)
	v_add_f32_e32 v0, v0, v13
	v_add_f32_e32 v1, v1, v5
	v_fma_f32 v22, v28, v51, -v22
	s_delay_alu instid0(VALU_DEP_3) | instskip(NEXT) | instid1(VALU_DEP_3)
	v_dual_sub_f32 v23, v10, v20 :: v_dual_add_f32 v0, v0, v15
	v_dual_add_f32 v1, v1, v14 :: v_dual_add_f32 v10, v10, v20
	s_delay_alu instid0(VALU_DEP_2) | instskip(NEXT) | instid1(VALU_DEP_2)
	v_dual_sub_f32 v49, v43, v22 :: v_dual_add_f32 v0, v0, v17
	v_add_f32_e32 v1, v1, v16
	v_fmac_f32_e32 v21, v30, v52
	v_fmac_f32_e32 v19, v28, v50
	v_mul_f32_e32 v28, 0x3f62ad3f, v10
	s_delay_alu instid0(VALU_DEP_4) | instskip(NEXT) | instid1(VALU_DEP_4)
	v_dual_mul_f32 v32, 0xbf7e222b, v23 :: v_dual_add_f32 v1, v1, v18
	v_add_f32_e32 v24, v54, v21
	s_delay_alu instid0(VALU_DEP_4) | instskip(SKIP_1) | instid1(VALU_DEP_4)
	v_add_f32_e32 v0, v0, v19
	v_dual_mul_f32 v25, 0xbeedf032, v23 :: v_dual_sub_f32 v26, v54, v21
	v_add_f32_e32 v1, v1, v22
	s_delay_alu instid0(VALU_DEP_4) | instskip(NEXT) | instid1(VALU_DEP_3)
	v_dual_fmamk_f32 v33, v24, 0x3df6dbef, v32 :: v_dual_mul_f32 v34, 0x3df6dbef, v10
	v_dual_add_f32 v0, v0, v21 :: v_dual_fmamk_f32 v21, v26, 0x3eedf032, v28
	v_fmac_f32_e32 v28, 0xbeedf032, v26
	v_fmamk_f32 v27, v24, 0x3f62ad3f, v25
	v_fma_f32 v25, 0x3f62ad3f, v24, -v25
	v_dual_add_f32 v33, v8, v33 :: v_dual_fmamk_f32 v36, v26, 0x3f7e222b, v34
	s_delay_alu instid0(VALU_DEP_4) | instskip(NEXT) | instid1(VALU_DEP_4)
	v_add_f32_e32 v28, v9, v28
	v_dual_add_f32 v1, v1, v20 :: v_dual_add_f32 v20, v8, v27
	s_delay_alu instid0(VALU_DEP_4) | instskip(NEXT) | instid1(VALU_DEP_4)
	v_add_f32_e32 v25, v8, v25
	v_dual_mul_f32 v27, 0xbf52af12, v23 :: v_dual_add_f32 v36, v9, v36
	v_mul_f32_e32 v29, 0x3f116cb1, v10
	v_fma_f32 v32, 0x3df6dbef, v24, -v32
	v_mul_f32_e32 v38, 0xbeb58ec6, v10
	s_delay_alu instid0(VALU_DEP_4) | instskip(SKIP_1) | instid1(VALU_DEP_4)
	v_fmamk_f32 v30, v24, 0x3f116cb1, v27
	v_fma_f32 v27, 0x3f116cb1, v24, -v27
	v_dual_fmamk_f32 v31, v26, 0x3f52af12, v29 :: v_dual_add_f32 v32, v8, v32
	v_mul_f32_e32 v45, 0xbf3f9e67, v10
	v_mul_f32_e32 v42, 0xbf29c268, v23
	s_delay_alu instid0(VALU_DEP_4) | instskip(NEXT) | instid1(VALU_DEP_4)
	v_add_f32_e32 v27, v8, v27
	v_dual_add_f32 v31, v9, v31 :: v_dual_fmac_f32 v34, 0xbf7e222b, v26
	v_mul_f32_e32 v35, 0xbf6f5d39, v23
	v_fmamk_f32 v47, v26, 0x3f29c268, v45
	v_dual_mul_f32 v23, 0xbe750f2a, v23 :: v_dual_add_f32 v22, v43, v22
	v_fmac_f32_e32 v45, 0xbf29c268, v26
	v_fmamk_f32 v46, v24, 0xbf3f9e67, v42
	v_fmamk_f32 v39, v26, 0x3f6f5d39, v38
	s_delay_alu instid0(VALU_DEP_4) | instskip(SKIP_2) | instid1(VALU_DEP_4)
	v_fmamk_f32 v48, v24, 0xbf788fa5, v23
	v_fmac_f32_e32 v29, 0xbf52af12, v26
	v_add_f32_e32 v34, v9, v34
	v_dual_add_f32 v46, v8, v46 :: v_dual_add_f32 v39, v9, v39
	v_fmac_f32_e32 v38, 0xbf6f5d39, v26
	v_fmamk_f32 v37, v24, 0xbeb58ec6, v35
	v_fma_f32 v35, 0xbeb58ec6, v24, -v35
	v_fma_f32 v42, 0xbf3f9e67, v24, -v42
	v_add_f32_e32 v48, v8, v48
	v_add_f32_e32 v38, v9, v38
	;; [unrolled: 1-line block ×3, first 2 shown]
	v_fma_f32 v23, 0xbf788fa5, v24, -v23
	v_add_f32_e32 v30, v8, v30
	v_dual_add_f32 v37, v8, v37 :: v_dual_mul_f32 v10, 0xbf788fa5, v10
	v_add_f32_e32 v35, v8, v35
	v_dual_add_f32 v42, v8, v42 :: v_dual_add_f32 v51, v11, v19
	v_mul_f32_e32 v24, 0x3f116cb1, v22
	v_add_f32_e32 v8, v8, v23
	v_dual_add_f32 v47, v9, v47 :: v_dual_mul_f32 v52, 0xbf52af12, v49
	v_dual_add_f32 v45, v9, v45 :: v_dual_fmamk_f32 v50, v26, 0x3e750f2a, v10
	v_dual_fmac_f32 v10, 0xbe750f2a, v26 :: v_dual_sub_f32 v11, v11, v19
	s_delay_alu instid0(VALU_DEP_3) | instskip(SKIP_1) | instid1(VALU_DEP_4)
	v_fmamk_f32 v19, v51, 0x3f116cb1, v52
	v_add_f32_e32 v21, v9, v21
	v_add_f32_e32 v26, v9, v50
	s_delay_alu instid0(VALU_DEP_4) | instskip(SKIP_4) | instid1(VALU_DEP_4)
	v_add_f32_e32 v9, v9, v10
	v_fma_f32 v23, 0x3f116cb1, v51, -v52
	v_add_f32_e32 v10, v19, v20
	v_fmamk_f32 v19, v11, 0x3f52af12, v24
	v_mul_f32_e32 v20, 0xbf6f5d39, v49
	v_dual_fmac_f32 v24, 0xbf52af12, v11 :: v_dual_add_f32 v23, v23, v25
	s_delay_alu instid0(VALU_DEP_3) | instskip(NEXT) | instid1(VALU_DEP_2)
	v_dual_mul_f32 v50, 0xbf3f9e67, v22 :: v_dual_add_f32 v19, v19, v21
	v_dual_fmamk_f32 v21, v51, 0xbeb58ec6, v20 :: v_dual_add_f32 v24, v24, v28
	s_delay_alu instid0(VALU_DEP_1) | instskip(SKIP_1) | instid1(VALU_DEP_2)
	v_dual_mul_f32 v28, 0xbe750f2a, v49 :: v_dual_add_f32 v21, v21, v30
	v_fma_f32 v20, 0xbeb58ec6, v51, -v20
	v_fmamk_f32 v30, v51, 0xbf788fa5, v28
	s_delay_alu instid0(VALU_DEP_2) | instskip(NEXT) | instid1(VALU_DEP_1)
	v_dual_mul_f32 v43, 0xbeb58ec6, v22 :: v_dual_add_f32 v20, v20, v27
	v_dual_add_f32 v30, v30, v33 :: v_dual_fmamk_f32 v25, v11, 0x3f6f5d39, v43
	s_delay_alu instid0(VALU_DEP_1) | instskip(SKIP_2) | instid1(VALU_DEP_2)
	v_add_f32_e32 v25, v25, v31
	v_mul_f32_e32 v31, 0xbf788fa5, v22
	v_fma_f32 v28, 0xbf788fa5, v51, -v28
	v_fmamk_f32 v33, v11, 0x3e750f2a, v31
	s_delay_alu instid0(VALU_DEP_2) | instskip(NEXT) | instid1(VALU_DEP_2)
	v_dual_fmac_f32 v31, 0xbe750f2a, v11 :: v_dual_add_f32 v28, v28, v32
	v_add_f32_e32 v33, v33, v36
	s_delay_alu instid0(VALU_DEP_2) | instskip(SKIP_1) | instid1(VALU_DEP_1)
	v_dual_add_f32 v31, v31, v34 :: v_dual_mul_f32 v36, 0x3f7e222b, v49
	v_fmamk_f32 v34, v11, 0xbf29c268, v50
	v_dual_add_f32 v34, v34, v39 :: v_dual_fmamk_f32 v39, v51, 0x3df6dbef, v36
	v_fmac_f32_e32 v50, 0x3f29c268, v11
	v_fma_f32 v36, 0x3df6dbef, v51, -v36
	s_delay_alu instid0(VALU_DEP_3) | instskip(NEXT) | instid1(VALU_DEP_3)
	v_add_f32_e32 v39, v39, v46
	v_dual_fmac_f32 v43, 0xbf6f5d39, v11 :: v_dual_add_f32 v38, v50, v38
	s_delay_alu instid0(VALU_DEP_3) | instskip(SKIP_1) | instid1(VALU_DEP_3)
	v_add_f32_e32 v36, v36, v42
	v_sub_f32_e32 v42, v40, v18
	v_dual_add_f32 v18, v40, v18 :: v_dual_add_f32 v27, v43, v29
	v_mul_f32_e32 v29, 0x3f29c268, v49
	s_delay_alu instid0(VALU_DEP_1) | instskip(SKIP_1) | instid1(VALU_DEP_2)
	v_fmamk_f32 v43, v51, 0xbf3f9e67, v29
	v_fma_f32 v29, 0xbf3f9e67, v51, -v29
	v_add_f32_e32 v32, v43, v37
	v_mul_f32_e32 v43, 0x3eedf032, v49
	s_delay_alu instid0(VALU_DEP_1) | instskip(SKIP_3) | instid1(VALU_DEP_3)
	v_dual_add_f32 v29, v29, v35 :: v_dual_fmamk_f32 v46, v51, 0x3f62ad3f, v43
	v_fma_f32 v40, 0x3f62ad3f, v51, -v43
	v_mul_f32_e32 v37, 0x3df6dbef, v22
	v_mul_f32_e32 v22, 0x3f62ad3f, v22
	v_dual_mul_f32 v43, 0x3df6dbef, v18 :: v_dual_add_f32 v8, v40, v8
	s_delay_alu instid0(VALU_DEP_3) | instskip(SKIP_1) | instid1(VALU_DEP_1)
	v_fmamk_f32 v35, v11, 0xbf7e222b, v37
	v_fmac_f32_e32 v37, 0x3f7e222b, v11
	v_add_f32_e32 v37, v37, v45
	v_dual_add_f32 v45, v46, v48 :: v_dual_mul_f32 v48, 0xbf7e222b, v42
	s_delay_alu instid0(VALU_DEP_4) | instskip(SKIP_3) | instid1(VALU_DEP_3)
	v_add_f32_e32 v35, v35, v47
	v_dual_add_f32 v47, v44, v17 :: v_dual_fmamk_f32 v46, v11, 0xbeedf032, v22
	v_dual_fmac_f32 v22, 0x3eedf032, v11 :: v_dual_sub_f32 v11, v44, v17
	v_mul_f32_e32 v44, 0xbf788fa5, v18
	v_fma_f32 v40, 0x3df6dbef, v47, -v48
	s_delay_alu instid0(VALU_DEP_4) | instskip(NEXT) | instid1(VALU_DEP_4)
	v_add_f32_e32 v26, v46, v26
	v_dual_add_f32 v9, v22, v9 :: v_dual_mul_f32 v22, 0xbe750f2a, v42
	s_delay_alu instid0(VALU_DEP_3) | instskip(SKIP_2) | instid1(VALU_DEP_1)
	v_dual_mul_f32 v46, 0x3f62ad3f, v18 :: v_dual_add_f32 v23, v40, v23
	v_fmamk_f32 v40, v11, 0x3e750f2a, v44
	v_fmamk_f32 v17, v47, 0x3df6dbef, v48
	v_dual_add_f32 v10, v17, v10 :: v_dual_fmamk_f32 v17, v11, 0x3f7e222b, v43
	s_delay_alu instid0(VALU_DEP_1) | instskip(SKIP_1) | instid1(VALU_DEP_1)
	v_add_f32_e32 v17, v17, v19
	v_fmamk_f32 v19, v47, 0xbf788fa5, v22
	v_add_f32_e32 v19, v19, v21
	v_fma_f32 v21, 0xbf788fa5, v47, -v22
	v_add_f32_e32 v22, v40, v25
	v_mul_f32_e32 v40, 0xbeb58ec6, v18
	v_fmac_f32_e32 v44, 0xbe750f2a, v11
	s_delay_alu instid0(VALU_DEP_1) | instskip(SKIP_1) | instid1(VALU_DEP_1)
	v_dual_add_f32 v20, v21, v20 :: v_dual_add_f32 v21, v44, v27
	v_mul_f32_e32 v27, 0x3eedf032, v42
	v_fmamk_f32 v44, v47, 0x3f62ad3f, v27
	s_delay_alu instid0(VALU_DEP_1) | instskip(NEXT) | instid1(VALU_DEP_1)
	v_dual_fmac_f32 v43, 0xbf7e222b, v11 :: v_dual_add_f32 v32, v44, v32
	v_dual_add_f32 v24, v43, v24 :: v_dual_mul_f32 v43, 0x3f6f5d39, v42
	s_delay_alu instid0(VALU_DEP_1) | instskip(NEXT) | instid1(VALU_DEP_1)
	v_fmamk_f32 v25, v47, 0xbeb58ec6, v43
	v_dual_add_f32 v25, v25, v30 :: v_dual_fmamk_f32 v30, v11, 0xbf6f5d39, v40
	v_fmac_f32_e32 v40, 0x3f6f5d39, v11
	v_fma_f32 v43, 0xbeb58ec6, v47, -v43
	s_delay_alu instid0(VALU_DEP_2) | instskip(SKIP_2) | instid1(VALU_DEP_4)
	v_dual_add_f32 v30, v30, v33 :: v_dual_add_f32 v31, v40, v31
	v_mul_f32_e32 v40, 0xbf52af12, v42
	v_fmamk_f32 v33, v11, 0xbeedf032, v46
	v_dual_add_f32 v28, v43, v28 :: v_dual_mul_f32 v43, 0x3f116cb1, v18
	v_fma_f32 v27, 0x3f62ad3f, v47, -v27
	v_mul_f32_e32 v18, 0xbf3f9e67, v18
	s_delay_alu instid0(VALU_DEP_4) | instskip(NEXT) | instid1(VALU_DEP_3)
	v_dual_add_f32 v33, v33, v34 :: v_dual_fmamk_f32 v34, v47, 0x3f116cb1, v40
	v_dual_mul_f32 v42, 0xbf29c268, v42 :: v_dual_add_f32 v27, v27, v29
	v_fmac_f32_e32 v46, 0x3eedf032, v11
	s_delay_alu instid0(VALU_DEP_3) | instskip(SKIP_1) | instid1(VALU_DEP_3)
	v_add_f32_e32 v34, v34, v39
	v_fma_f32 v39, 0x3f116cb1, v47, -v40
	v_add_f32_e32 v38, v46, v38
	s_delay_alu instid0(VALU_DEP_2) | instskip(SKIP_4) | instid1(VALU_DEP_4)
	v_add_f32_e32 v36, v39, v36
	v_dual_sub_f32 v39, v12, v16 :: v_dual_fmamk_f32 v40, v11, 0x3f29c268, v18
	v_fmamk_f32 v29, v11, 0x3f52af12, v43
	v_dual_fmac_f32 v43, 0xbf52af12, v11 :: v_dual_add_f32 v12, v12, v16
	v_fma_f32 v16, 0xbf3f9e67, v47, -v42
	v_mul_f32_e32 v44, 0xbf6f5d39, v39
	s_delay_alu instid0(VALU_DEP_3) | instskip(SKIP_1) | instid1(VALU_DEP_4)
	v_dual_fmac_f32 v18, 0xbf29c268, v11 :: v_dual_add_f32 v37, v43, v37
	v_dual_add_f32 v43, v41, v15 :: v_dual_add_f32 v26, v40, v26
	v_dual_add_f32 v29, v29, v35 :: v_dual_add_f32 v8, v16, v8
	v_dual_fmamk_f32 v35, v47, 0xbf3f9e67, v42 :: v_dual_mul_f32 v40, 0xbf3f9e67, v12
	v_sub_f32_e32 v11, v41, v15
	v_mul_f32_e32 v41, 0xbeb58ec6, v12
	v_dual_add_f32 v9, v18, v9 :: v_dual_mul_f32 v16, 0x3f29c268, v39
	s_delay_alu instid0(VALU_DEP_4) | instskip(SKIP_1) | instid1(VALU_DEP_1)
	v_add_f32_e32 v35, v35, v45
	v_fma_f32 v18, 0xbeb58ec6, v43, -v44
	v_dual_fmamk_f32 v15, v43, 0xbeb58ec6, v44 :: v_dual_add_f32 v18, v18, v23
	s_delay_alu instid0(VALU_DEP_1) | instskip(SKIP_2) | instid1(VALU_DEP_2)
	v_add_f32_e32 v10, v15, v10
	v_fmamk_f32 v15, v11, 0x3f6f5d39, v41
	v_fmac_f32_e32 v41, 0xbf6f5d39, v11
	v_add_f32_e32 v15, v15, v17
	v_fmamk_f32 v17, v43, 0xbf3f9e67, v16
	s_delay_alu instid0(VALU_DEP_3) | instskip(SKIP_2) | instid1(VALU_DEP_4)
	v_dual_add_f32 v23, v41, v24 :: v_dual_fmamk_f32 v24, v11, 0xbf29c268, v40
	v_mul_f32_e32 v41, 0x3eedf032, v39
	v_fma_f32 v16, 0xbf3f9e67, v43, -v16
	v_add_f32_e32 v17, v17, v19
	s_delay_alu instid0(VALU_DEP_3) | instskip(SKIP_3) | instid1(VALU_DEP_3)
	v_dual_add_f32 v19, v24, v22 :: v_dual_fmamk_f32 v22, v43, 0x3f62ad3f, v41
	v_mul_f32_e32 v24, 0x3f62ad3f, v12
	v_fmac_f32_e32 v40, 0x3f29c268, v11
	v_add_f32_e32 v16, v16, v20
	v_dual_add_f32 v22, v22, v25 :: v_dual_fmamk_f32 v25, v11, 0xbeedf032, v24
	v_fmac_f32_e32 v24, 0x3eedf032, v11
	s_delay_alu instid0(VALU_DEP_4) | instskip(NEXT) | instid1(VALU_DEP_2)
	v_dual_add_f32 v20, v40, v21 :: v_dual_mul_f32 v21, 0xbf7e222b, v39
	v_add_f32_e32 v24, v24, v31
	s_delay_alu instid0(VALU_DEP_4) | instskip(NEXT) | instid1(VALU_DEP_1)
	v_dual_mul_f32 v42, 0x3df6dbef, v12 :: v_dual_add_f32 v25, v25, v30
	v_fmamk_f32 v31, v11, 0x3f7e222b, v42
	s_delay_alu instid0(VALU_DEP_1) | instskip(NEXT) | instid1(VALU_DEP_1)
	v_dual_fmac_f32 v42, 0xbf7e222b, v11 :: v_dual_add_f32 v31, v31, v33
	v_add_f32_e32 v38, v42, v38
	v_fma_f32 v40, 0x3f62ad3f, v43, -v41
	s_delay_alu instid0(VALU_DEP_1) | instskip(NEXT) | instid1(VALU_DEP_1)
	v_dual_fmamk_f32 v41, v43, 0x3df6dbef, v21 :: v_dual_add_f32 v28, v40, v28
	v_add_f32_e32 v30, v41, v32
	v_mul_f32_e32 v32, 0x3e750f2a, v39
	v_fma_f32 v21, 0x3df6dbef, v43, -v21
	v_mul_f32_e32 v40, 0xbf788fa5, v12
	v_mul_f32_e32 v39, 0x3f52af12, v39
	;; [unrolled: 1-line block ×3, first 2 shown]
	v_fmamk_f32 v33, v43, 0xbf788fa5, v32
	v_add_f32_e32 v21, v21, v27
	v_fmamk_f32 v27, v11, 0xbe750f2a, v40
	v_fma_f32 v32, 0xbf788fa5, v43, -v32
	s_delay_alu instid0(VALU_DEP_4) | instskip(SKIP_1) | instid1(VALU_DEP_3)
	v_dual_fmac_f32 v40, 0x3e750f2a, v11 :: v_dual_add_f32 v33, v33, v34
	v_sub_f32_e32 v34, v7, v14
	v_dual_add_f32 v7, v7, v14 :: v_dual_add_f32 v32, v32, v36
	s_delay_alu instid0(VALU_DEP_3) | instskip(NEXT) | instid1(VALU_DEP_3)
	v_add_f32_e32 v36, v40, v37
	v_dual_add_f32 v37, v6, v13 :: v_dual_mul_f32 v40, 0xbf29c268, v34
	v_fma_f32 v14, 0x3f116cb1, v43, -v39
	v_sub_f32_e32 v6, v6, v13
	v_add_f32_e32 v27, v27, v29
	s_delay_alu instid0(VALU_DEP_3) | instskip(SKIP_1) | instid1(VALU_DEP_2)
	v_dual_fmamk_f32 v29, v43, 0x3f116cb1, v39 :: v_dual_add_f32 v8, v14, v8
	v_fma_f32 v14, 0xbf3f9e67, v37, -v40
	v_add_f32_e32 v29, v29, v35
	v_fmamk_f32 v35, v11, 0xbf52af12, v12
	v_fmac_f32_e32 v12, 0x3f52af12, v11
	s_delay_alu instid0(VALU_DEP_4) | instskip(NEXT) | instid1(VALU_DEP_3)
	v_dual_add_f32 v14, v14, v18 :: v_dual_fmamk_f32 v11, v37, 0xbf3f9e67, v40
	v_dual_mul_f32 v13, 0xbf3f9e67, v7 :: v_dual_add_f32 v26, v35, v26
	v_mul_f32_e32 v35, 0x3df6dbef, v7
	s_delay_alu instid0(VALU_DEP_4) | instskip(NEXT) | instid1(VALU_DEP_4)
	v_dual_add_f32 v9, v12, v9 :: v_dual_mul_f32 v12, 0x3f7e222b, v34
	v_dual_add_f32 v10, v11, v10 :: v_dual_mul_f32 v39, 0xbf788fa5, v7
	s_delay_alu instid0(VALU_DEP_3) | instskip(SKIP_3) | instid1(VALU_DEP_1)
	v_fmamk_f32 v18, v6, 0xbf7e222b, v35
	v_fmac_f32_e32 v35, 0x3f7e222b, v6
	v_fmamk_f32 v11, v6, 0x3f29c268, v13
	v_fmac_f32_e32 v13, 0xbf29c268, v6
	v_add_f32_e32 v13, v13, v23
	v_mul_f32_e32 v23, 0xbf52af12, v34
	s_delay_alu instid0(VALU_DEP_4) | instskip(SKIP_2) | instid1(VALU_DEP_1)
	v_add_f32_e32 v11, v11, v15
	v_fmamk_f32 v15, v37, 0x3df6dbef, v12
	v_fma_f32 v12, 0x3df6dbef, v37, -v12
	v_dual_add_f32 v15, v15, v17 :: v_dual_add_f32 v12, v12, v16
	v_add_f32_e32 v16, v35, v20
	v_dual_mul_f32 v20, 0x3e750f2a, v34 :: v_dual_add_f32 v17, v18, v19
	v_mul_f32_e32 v19, 0x3f116cb1, v7
	s_delay_alu instid0(VALU_DEP_2) | instskip(SKIP_1) | instid1(VALU_DEP_1)
	v_fmamk_f32 v35, v37, 0xbf788fa5, v20
	v_fma_f32 v20, 0xbf788fa5, v37, -v20
	v_add_f32_e32 v20, v20, v21
	v_fmamk_f32 v18, v37, 0x3f116cb1, v23
	v_fma_f32 v23, 0x3f116cb1, v37, -v23
	s_delay_alu instid0(VALU_DEP_2) | instskip(NEXT) | instid1(VALU_DEP_2)
	v_add_f32_e32 v18, v18, v22
	v_dual_fmamk_f32 v22, v6, 0x3f52af12, v19 :: v_dual_add_f32 v23, v23, v28
	v_mul_f32_e32 v28, 0x3eedf032, v34
	v_mul_f32_e32 v34, 0xbf6f5d39, v34
	s_delay_alu instid0(VALU_DEP_3) | instskip(SKIP_2) | instid1(VALU_DEP_2)
	v_add_f32_e32 v22, v22, v25
	v_fmamk_f32 v25, v6, 0xbe750f2a, v39
	v_fmac_f32_e32 v39, 0x3e750f2a, v6
	v_add_f32_e32 v25, v25, v31
	v_fmamk_f32 v31, v37, 0x3f62ad3f, v28
	v_fma_f32 v28, 0x3f62ad3f, v37, -v28
	s_delay_alu instid0(VALU_DEP_1) | instskip(SKIP_1) | instid1(VALU_DEP_1)
	v_add_f32_e32 v28, v28, v32
	v_dual_sub_f32 v32, v4, v5 :: v_dual_fmac_f32 v19, 0xbf52af12, v6
	v_add_f32_e32 v19, v19, v24
	v_add_f32_e32 v24, v35, v30
	v_dual_mul_f32 v30, 0x3f62ad3f, v7 :: v_dual_add_f32 v31, v31, v33
	v_add_f32_e32 v33, v2, v3
	v_dual_add_f32 v35, v39, v38 :: v_dual_add_f32 v38, v4, v5
	s_delay_alu instid0(VALU_DEP_3)
	v_fmamk_f32 v21, v6, 0xbeedf032, v30
	v_fma_f32 v4, 0xbeb58ec6, v37, -v34
	v_fmac_f32_e32 v30, 0x3eedf032, v6
	v_mul_f32_e32 v7, 0xbeb58ec6, v7
	v_mul_f32_e32 v5, 0xbf788fa5, v38
	v_add_f32_e32 v21, v21, v27
	v_dual_fmamk_f32 v27, v37, 0xbeb58ec6, v34 :: v_dual_sub_f32 v34, v2, v3
	v_add_f32_e32 v30, v30, v36
	s_delay_alu instid0(VALU_DEP_2) | instskip(NEXT) | instid1(VALU_DEP_3)
	v_dual_mul_f32 v36, 0xbe750f2a, v32 :: v_dual_add_f32 v27, v27, v29
	v_fmamk_f32 v3, v34, 0x3e750f2a, v5
	v_fmac_f32_e32 v5, 0xbe750f2a, v34
	s_delay_alu instid0(VALU_DEP_2) | instskip(SKIP_1) | instid1(VALU_DEP_3)
	v_add_f32_e32 v3, v3, v11
	v_mul_f32_e32 v11, 0xbf29c268, v32
	v_add_f32_e32 v5, v5, v13
	s_delay_alu instid0(VALU_DEP_2) | instskip(SKIP_2) | instid1(VALU_DEP_2)
	v_fmamk_f32 v13, v33, 0xbf3f9e67, v11
	v_fmamk_f32 v29, v6, 0x3f6f5d39, v7
	v_fmac_f32_e32 v7, 0xbf6f5d39, v6
	v_dual_add_f32 v26, v29, v26 :: v_dual_add_f32 v29, v4, v8
	v_fma_f32 v4, 0xbf788fa5, v33, -v36
	s_delay_alu instid0(VALU_DEP_1) | instskip(NEXT) | instid1(VALU_DEP_4)
	v_add_f32_e32 v4, v4, v14
	v_dual_mul_f32 v14, 0xbf3f9e67, v38 :: v_dual_add_f32 v37, v7, v9
	v_mul_f32_e32 v7, 0x3eedf032, v32
	v_fmamk_f32 v2, v33, 0xbf788fa5, v36
	s_delay_alu instid0(VALU_DEP_2) | instskip(NEXT) | instid1(VALU_DEP_2)
	v_dual_mul_f32 v9, 0x3f62ad3f, v38 :: v_dual_fmamk_f32 v6, v33, 0x3f62ad3f, v7
	v_add_f32_e32 v2, v2, v10
	s_delay_alu instid0(VALU_DEP_2) | instskip(SKIP_1) | instid1(VALU_DEP_4)
	v_fmamk_f32 v8, v34, 0xbeedf032, v9
	v_fma_f32 v10, 0x3f62ad3f, v33, -v7
	v_dual_fmac_f32 v9, 0x3eedf032, v34 :: v_dual_add_f32 v6, v6, v15
	v_mul_f32_e32 v15, 0x3f52af12, v32
	s_delay_alu instid0(VALU_DEP_3) | instskip(NEXT) | instid1(VALU_DEP_3)
	v_dual_add_f32 v7, v8, v17 :: v_dual_add_f32 v8, v10, v12
	v_add_f32_e32 v9, v9, v16
	v_add_f32_e32 v10, v13, v18
	v_fmamk_f32 v12, v34, 0x3f29c268, v14
	v_fma_f32 v13, 0xbf3f9e67, v33, -v11
	v_fmac_f32_e32 v14, 0xbf29c268, v34
	v_dual_fmamk_f32 v16, v33, 0x3f116cb1, v15 :: v_dual_mul_f32 v17, 0x3f116cb1, v38
	s_delay_alu instid0(VALU_DEP_4) | instskip(NEXT) | instid1(VALU_DEP_4)
	v_dual_mul_f32 v18, 0xbf6f5d39, v32 :: v_dual_add_f32 v11, v12, v22
	v_add_f32_e32 v12, v13, v23
	s_delay_alu instid0(VALU_DEP_4) | instskip(NEXT) | instid1(VALU_DEP_4)
	v_dual_mul_f32 v22, 0xbeb58ec6, v38 :: v_dual_add_f32 v13, v14, v19
	v_add_f32_e32 v14, v16, v24
	v_fmamk_f32 v16, v34, 0xbf52af12, v17
	v_fma_f32 v19, 0x3f116cb1, v33, -v15
	v_fmamk_f32 v23, v33, 0xbeb58ec6, v18
	v_fmac_f32_e32 v17, 0x3f52af12, v34
	ds_store_b64 v105, v[0:1]
	ds_store_2addr_b64 v105, v[2:3], v[6:7] offset0:102 offset1:204
	v_dual_add_f32 v15, v16, v25 :: v_dual_add_f32 v16, v19, v20
	v_fma_f32 v20, 0xbeb58ec6, v33, -v18
	v_dual_mul_f32 v25, 0x3df6dbef, v38 :: v_dual_add_f32 v18, v23, v31
	v_mul_f32_e32 v23, 0x3f7e222b, v32
	s_delay_alu instid0(VALU_DEP_3) | instskip(NEXT) | instid1(VALU_DEP_3)
	v_dual_fmamk_f32 v19, v34, 0x3f6f5d39, v22 :: v_dual_add_f32 v20, v20, v28
	v_fmamk_f32 v28, v34, 0xbf7e222b, v25
	v_fmac_f32_e32 v22, 0xbf6f5d39, v34
	s_delay_alu instid0(VALU_DEP_4)
	v_fmamk_f32 v24, v33, 0x3df6dbef, v23
	v_fma_f32 v31, 0x3df6dbef, v33, -v23
	v_fmac_f32_e32 v25, 0x3f7e222b, v34
	v_add_f32_e32 v19, v19, v21
	v_dual_add_f32 v21, v22, v30 :: v_dual_add_nc_u32 v2, 0x1400, v105
	v_dual_add_f32 v23, v28, v26 :: v_dual_add_nc_u32 v0, 0x2000, v105
	v_add_nc_u32_e32 v3, 0x800, v105
	v_add_nc_u32_e32 v1, 0x1800, v105
	v_dual_add_f32 v17, v17, v35 :: v_dual_add_nc_u32 v6, 0xc00, v105
	v_add_f32_e32 v22, v24, v27
	v_add_f32_e32 v24, v31, v29
	;; [unrolled: 1-line block ×3, first 2 shown]
	ds_store_2addr_b64 v3, v[10:11], v[14:15] offset0:50 offset1:152
	ds_store_2addr_b64 v6, v[18:19], v[22:23] offset0:126 offset1:228
	;; [unrolled: 1-line block ×5, first 2 shown]
	global_wb scope:SCOPE_SE
	s_wait_dscnt 0x0
	s_barrier_signal -1
	s_barrier_wait -1
	global_inv scope:SCOPE_SE
	s_and_b32 exec_lo, exec_lo, vcc_lo
	s_cbranch_execz .LBB0_23
; %bb.22:
	global_load_b64 v[4:5], v101, s[8:9]
	ds_load_b64 v[6:7], v105
	v_mad_co_u64_u32 v[10:11], null, s4, v102, 0
	s_mov_b32 s0, 0x18b64019
	s_mov_b32 s1, 0x3f48b640
	s_mul_u64 s[2:3], s[4:5], 0x270
	s_wait_loadcnt_dscnt 0x0
	v_mul_f32_e32 v8, v7, v5
	v_mul_f32_e32 v5, v6, v5
	s_delay_alu instid0(VALU_DEP_2) | instskip(NEXT) | instid1(VALU_DEP_2)
	v_fmac_f32_e32 v8, v6, v4
	v_fma_f32 v6, v4, v7, -v5
	s_delay_alu instid0(VALU_DEP_2) | instskip(NEXT) | instid1(VALU_DEP_2)
	v_cvt_f64_f32_e32 v[4:5], v8
	v_cvt_f64_f32_e32 v[6:7], v6
	v_mad_co_u64_u32 v[8:9], null, s6, v82, 0
	s_wait_alu 0xfffe
	s_delay_alu instid0(VALU_DEP_3) | instskip(NEXT) | instid1(VALU_DEP_3)
	v_mul_f64_e32 v[4:5], s[0:1], v[4:5]
	v_mul_f64_e32 v[6:7], s[0:1], v[6:7]
	s_delay_alu instid0(VALU_DEP_2) | instskip(NEXT) | instid1(VALU_DEP_2)
	v_cvt_f32_f64_e32 v4, v[4:5]
	v_cvt_f32_f64_e32 v5, v[6:7]
	v_dual_mov_b32 v7, v11 :: v_dual_mov_b32 v6, v9
	s_delay_alu instid0(VALU_DEP_1) | instskip(SKIP_1) | instid1(VALU_DEP_2)
	v_mad_co_u64_u32 v[11:12], null, s7, v82, v[6:7]
	v_mad_co_u64_u32 v[6:7], null, s5, v102, v[7:8]
	v_mov_b32_e32 v9, v11
	s_delay_alu instid0(VALU_DEP_2) | instskip(NEXT) | instid1(VALU_DEP_2)
	v_mov_b32_e32 v11, v6
	v_lshlrev_b64_e32 v[6:7], 3, v[8:9]
	s_delay_alu instid0(VALU_DEP_2) | instskip(NEXT) | instid1(VALU_DEP_2)
	v_lshlrev_b64_e32 v[8:9], 3, v[10:11]
	v_add_co_u32 v6, vcc_lo, s12, v6
	s_wait_alu 0xfffd
	s_delay_alu instid0(VALU_DEP_3) | instskip(NEXT) | instid1(VALU_DEP_2)
	v_add_co_ci_u32_e32 v7, vcc_lo, s13, v7, vcc_lo
	v_add_co_u32 v8, vcc_lo, v6, v8
	s_wait_alu 0xfffd
	s_delay_alu instid0(VALU_DEP_2)
	v_add_co_ci_u32_e32 v9, vcc_lo, v7, v9, vcc_lo
	global_store_b64 v[8:9], v[4:5], off
	global_load_b64 v[10:11], v101, s[8:9] offset:624
	ds_load_2addr_b64 v[4:7], v105 offset0:78 offset1:156
	v_add_co_u32 v8, vcc_lo, v8, s2
	s_wait_alu 0xfffd
	v_add_co_ci_u32_e32 v9, vcc_lo, s3, v9, vcc_lo
	s_wait_loadcnt_dscnt 0x0
	v_mul_f32_e32 v12, v5, v11
	v_mul_f32_e32 v11, v4, v11
	s_delay_alu instid0(VALU_DEP_2) | instskip(NEXT) | instid1(VALU_DEP_2)
	v_fmac_f32_e32 v12, v4, v10
	v_fma_f32 v10, v10, v5, -v11
	s_delay_alu instid0(VALU_DEP_2) | instskip(NEXT) | instid1(VALU_DEP_2)
	v_cvt_f64_f32_e32 v[4:5], v12
	v_cvt_f64_f32_e32 v[10:11], v10
	s_delay_alu instid0(VALU_DEP_2) | instskip(NEXT) | instid1(VALU_DEP_2)
	v_mul_f64_e32 v[4:5], s[0:1], v[4:5]
	v_mul_f64_e32 v[10:11], s[0:1], v[10:11]
	s_delay_alu instid0(VALU_DEP_2) | instskip(NEXT) | instid1(VALU_DEP_2)
	v_cvt_f32_f64_e32 v4, v[4:5]
	v_cvt_f32_f64_e32 v5, v[10:11]
	global_store_b64 v[8:9], v[4:5], off
	global_load_b64 v[4:5], v101, s[8:9] offset:1248
	v_add_co_u32 v8, vcc_lo, v8, s2
	s_wait_alu 0xfffd
	v_add_co_ci_u32_e32 v9, vcc_lo, s3, v9, vcc_lo
	s_wait_loadcnt 0x0
	v_mul_f32_e32 v10, v7, v5
	v_mul_f32_e32 v5, v6, v5
	s_delay_alu instid0(VALU_DEP_2) | instskip(NEXT) | instid1(VALU_DEP_2)
	v_fmac_f32_e32 v10, v6, v4
	v_fma_f32 v6, v4, v7, -v5
	s_delay_alu instid0(VALU_DEP_2) | instskip(NEXT) | instid1(VALU_DEP_2)
	v_cvt_f64_f32_e32 v[4:5], v10
	v_cvt_f64_f32_e32 v[6:7], v6
	s_delay_alu instid0(VALU_DEP_2) | instskip(NEXT) | instid1(VALU_DEP_2)
	v_mul_f64_e32 v[4:5], s[0:1], v[4:5]
	v_mul_f64_e32 v[6:7], s[0:1], v[6:7]
	s_delay_alu instid0(VALU_DEP_2) | instskip(NEXT) | instid1(VALU_DEP_2)
	v_cvt_f32_f64_e32 v4, v[4:5]
	v_cvt_f32_f64_e32 v5, v[6:7]
	global_store_b64 v[8:9], v[4:5], off
	global_load_b64 v[10:11], v101, s[8:9] offset:1872
	v_add_nc_u32_e32 v4, 0x400, v105
	v_add_co_u32 v8, vcc_lo, v8, s2
	s_wait_alu 0xfffd
	v_add_co_ci_u32_e32 v9, vcc_lo, s3, v9, vcc_lo
	ds_load_2addr_b64 v[4:7], v4 offset0:106 offset1:184
	s_wait_loadcnt_dscnt 0x0
	v_mul_f32_e32 v12, v5, v11
	v_mul_f32_e32 v11, v4, v11
	s_delay_alu instid0(VALU_DEP_2) | instskip(NEXT) | instid1(VALU_DEP_2)
	v_fmac_f32_e32 v12, v4, v10
	v_fma_f32 v10, v10, v5, -v11
	s_delay_alu instid0(VALU_DEP_2) | instskip(NEXT) | instid1(VALU_DEP_2)
	v_cvt_f64_f32_e32 v[4:5], v12
	v_cvt_f64_f32_e32 v[10:11], v10
	s_delay_alu instid0(VALU_DEP_2) | instskip(NEXT) | instid1(VALU_DEP_2)
	v_mul_f64_e32 v[4:5], s[0:1], v[4:5]
	v_mul_f64_e32 v[10:11], s[0:1], v[10:11]
	s_delay_alu instid0(VALU_DEP_2) | instskip(NEXT) | instid1(VALU_DEP_2)
	v_cvt_f32_f64_e32 v4, v[4:5]
	v_cvt_f32_f64_e32 v5, v[10:11]
	global_store_b64 v[8:9], v[4:5], off
	global_load_b64 v[4:5], v101, s[8:9] offset:2496
	s_wait_loadcnt 0x0
	v_mul_f32_e32 v10, v7, v5
	v_mul_f32_e32 v5, v6, v5
	s_delay_alu instid0(VALU_DEP_2) | instskip(NEXT) | instid1(VALU_DEP_2)
	v_fmac_f32_e32 v10, v6, v4
	v_fma_f32 v6, v4, v7, -v5
	s_delay_alu instid0(VALU_DEP_2) | instskip(NEXT) | instid1(VALU_DEP_2)
	v_cvt_f64_f32_e32 v[4:5], v10
	v_cvt_f64_f32_e32 v[6:7], v6
	s_delay_alu instid0(VALU_DEP_2) | instskip(NEXT) | instid1(VALU_DEP_2)
	v_mul_f64_e32 v[4:5], s[0:1], v[4:5]
	v_mul_f64_e32 v[6:7], s[0:1], v[6:7]
	s_delay_alu instid0(VALU_DEP_2) | instskip(NEXT) | instid1(VALU_DEP_2)
	v_cvt_f32_f64_e32 v4, v[4:5]
	v_cvt_f32_f64_e32 v5, v[6:7]
	v_add_co_u32 v7, vcc_lo, v8, s2
	s_wait_alu 0xfffd
	v_add_co_ci_u32_e32 v8, vcc_lo, s3, v9, vcc_lo
	global_store_b64 v[7:8], v[4:5], off
	global_load_b64 v[9:10], v101, s[8:9] offset:3120
	ds_load_2addr_b64 v[3:6], v3 offset0:134 offset1:212
	v_add_co_u32 v7, vcc_lo, v7, s2
	s_wait_alu 0xfffd
	v_add_co_ci_u32_e32 v8, vcc_lo, s3, v8, vcc_lo
	s_wait_loadcnt_dscnt 0x0
	v_mul_f32_e32 v11, v4, v10
	v_mul_f32_e32 v10, v3, v10
	s_delay_alu instid0(VALU_DEP_2) | instskip(NEXT) | instid1(VALU_DEP_2)
	v_fmac_f32_e32 v11, v3, v9
	v_fma_f32 v9, v9, v4, -v10
	s_delay_alu instid0(VALU_DEP_2) | instskip(NEXT) | instid1(VALU_DEP_2)
	v_cvt_f64_f32_e32 v[3:4], v11
	v_cvt_f64_f32_e32 v[9:10], v9
	s_delay_alu instid0(VALU_DEP_2) | instskip(NEXT) | instid1(VALU_DEP_2)
	v_mul_f64_e32 v[3:4], s[0:1], v[3:4]
	v_mul_f64_e32 v[9:10], s[0:1], v[9:10]
	s_delay_alu instid0(VALU_DEP_2) | instskip(NEXT) | instid1(VALU_DEP_2)
	v_cvt_f32_f64_e32 v3, v[3:4]
	v_cvt_f32_f64_e32 v4, v[9:10]
	global_store_b64 v[7:8], v[3:4], off
	global_load_b64 v[3:4], v101, s[8:9] offset:3744
	v_add_co_u32 v7, vcc_lo, v7, s2
	s_wait_alu 0xfffd
	v_add_co_ci_u32_e32 v8, vcc_lo, s3, v8, vcc_lo
	s_wait_loadcnt 0x0
	v_mul_f32_e32 v9, v6, v4
	v_mul_f32_e32 v4, v5, v4
	s_delay_alu instid0(VALU_DEP_2) | instskip(NEXT) | instid1(VALU_DEP_2)
	v_fmac_f32_e32 v9, v5, v3
	v_fma_f32 v5, v3, v6, -v4
	s_delay_alu instid0(VALU_DEP_2) | instskip(NEXT) | instid1(VALU_DEP_2)
	v_cvt_f64_f32_e32 v[3:4], v9
	v_cvt_f64_f32_e32 v[5:6], v5
	s_delay_alu instid0(VALU_DEP_2) | instskip(NEXT) | instid1(VALU_DEP_2)
	v_mul_f64_e32 v[3:4], s[0:1], v[3:4]
	v_mul_f64_e32 v[5:6], s[0:1], v[5:6]
	s_delay_alu instid0(VALU_DEP_2) | instskip(NEXT) | instid1(VALU_DEP_2)
	v_cvt_f32_f64_e32 v3, v[3:4]
	v_cvt_f32_f64_e32 v4, v[5:6]
	global_store_b64 v[7:8], v[3:4], off
	global_load_b64 v[9:10], v101, s[8:9] offset:4368
	v_add_nc_u32_e32 v3, 0x1000, v105
	v_add_co_u32 v7, vcc_lo, v7, s2
	s_wait_alu 0xfffd
	v_add_co_ci_u32_e32 v8, vcc_lo, s3, v8, vcc_lo
	ds_load_2addr_b64 v[3:6], v3 offset0:34 offset1:112
	s_wait_loadcnt_dscnt 0x0
	v_mul_f32_e32 v11, v4, v10
	v_mul_f32_e32 v10, v3, v10
	s_delay_alu instid0(VALU_DEP_2) | instskip(NEXT) | instid1(VALU_DEP_2)
	v_fmac_f32_e32 v11, v3, v9
	v_fma_f32 v9, v9, v4, -v10
	s_delay_alu instid0(VALU_DEP_2) | instskip(NEXT) | instid1(VALU_DEP_2)
	v_cvt_f64_f32_e32 v[3:4], v11
	v_cvt_f64_f32_e32 v[9:10], v9
	s_delay_alu instid0(VALU_DEP_2) | instskip(NEXT) | instid1(VALU_DEP_2)
	v_mul_f64_e32 v[3:4], s[0:1], v[3:4]
	v_mul_f64_e32 v[9:10], s[0:1], v[9:10]
	s_delay_alu instid0(VALU_DEP_2) | instskip(NEXT) | instid1(VALU_DEP_2)
	v_cvt_f32_f64_e32 v3, v[3:4]
	v_cvt_f32_f64_e32 v4, v[9:10]
	global_store_b64 v[7:8], v[3:4], off
	global_load_b64 v[3:4], v101, s[8:9] offset:4992
	s_wait_loadcnt 0x0
	v_mul_f32_e32 v9, v6, v4
	v_mul_f32_e32 v4, v5, v4
	s_delay_alu instid0(VALU_DEP_2) | instskip(NEXT) | instid1(VALU_DEP_2)
	v_fmac_f32_e32 v9, v5, v3
	v_fma_f32 v5, v3, v6, -v4
	s_delay_alu instid0(VALU_DEP_2) | instskip(NEXT) | instid1(VALU_DEP_2)
	v_cvt_f64_f32_e32 v[3:4], v9
	v_cvt_f64_f32_e32 v[5:6], v5
	s_delay_alu instid0(VALU_DEP_2) | instskip(NEXT) | instid1(VALU_DEP_2)
	v_mul_f64_e32 v[3:4], s[0:1], v[3:4]
	v_mul_f64_e32 v[5:6], s[0:1], v[5:6]
	s_delay_alu instid0(VALU_DEP_2) | instskip(NEXT) | instid1(VALU_DEP_2)
	v_cvt_f32_f64_e32 v3, v[3:4]
	v_cvt_f32_f64_e32 v4, v[5:6]
	v_add_co_u32 v6, vcc_lo, v7, s2
	s_wait_alu 0xfffd
	v_add_co_ci_u32_e32 v7, vcc_lo, s3, v8, vcc_lo
	global_store_b64 v[6:7], v[3:4], off
	global_load_b64 v[8:9], v101, s[8:9] offset:5616
	ds_load_2addr_b64 v[2:5], v2 offset0:62 offset1:140
	v_add_co_u32 v6, vcc_lo, v6, s2
	s_wait_alu 0xfffd
	v_add_co_ci_u32_e32 v7, vcc_lo, s3, v7, vcc_lo
	s_wait_loadcnt_dscnt 0x0
	v_mul_f32_e32 v10, v3, v9
	v_mul_f32_e32 v9, v2, v9
	s_delay_alu instid0(VALU_DEP_2) | instskip(NEXT) | instid1(VALU_DEP_2)
	v_fmac_f32_e32 v10, v2, v8
	v_fma_f32 v8, v8, v3, -v9
	s_delay_alu instid0(VALU_DEP_2) | instskip(NEXT) | instid1(VALU_DEP_2)
	v_cvt_f64_f32_e32 v[2:3], v10
	v_cvt_f64_f32_e32 v[8:9], v8
	s_delay_alu instid0(VALU_DEP_2) | instskip(NEXT) | instid1(VALU_DEP_2)
	v_mul_f64_e32 v[2:3], s[0:1], v[2:3]
	v_mul_f64_e32 v[8:9], s[0:1], v[8:9]
	s_delay_alu instid0(VALU_DEP_2) | instskip(NEXT) | instid1(VALU_DEP_2)
	v_cvt_f32_f64_e32 v2, v[2:3]
	v_cvt_f32_f64_e32 v3, v[8:9]
	global_store_b64 v[6:7], v[2:3], off
	global_load_b64 v[2:3], v101, s[8:9] offset:6240
	s_wait_loadcnt 0x0
	v_mul_f32_e32 v8, v5, v3
	v_mul_f32_e32 v3, v4, v3
	s_delay_alu instid0(VALU_DEP_2) | instskip(NEXT) | instid1(VALU_DEP_2)
	v_fmac_f32_e32 v8, v4, v2
	v_fma_f32 v4, v2, v5, -v3
	s_delay_alu instid0(VALU_DEP_2) | instskip(NEXT) | instid1(VALU_DEP_2)
	v_cvt_f64_f32_e32 v[2:3], v8
	v_cvt_f64_f32_e32 v[4:5], v4
	s_delay_alu instid0(VALU_DEP_2) | instskip(NEXT) | instid1(VALU_DEP_2)
	v_mul_f64_e32 v[2:3], s[0:1], v[2:3]
	v_mul_f64_e32 v[4:5], s[0:1], v[4:5]
	s_delay_alu instid0(VALU_DEP_2) | instskip(NEXT) | instid1(VALU_DEP_2)
	v_cvt_f32_f64_e32 v2, v[2:3]
	v_cvt_f32_f64_e32 v3, v[4:5]
	v_add_co_u32 v5, vcc_lo, v6, s2
	s_wait_alu 0xfffd
	v_add_co_ci_u32_e32 v6, vcc_lo, s3, v7, vcc_lo
	global_store_b64 v[5:6], v[2:3], off
	global_load_b64 v[7:8], v101, s[8:9] offset:6864
	ds_load_2addr_b64 v[1:4], v1 offset0:90 offset1:168
	v_add_co_u32 v5, vcc_lo, v5, s2
	s_wait_alu 0xfffd
	v_add_co_ci_u32_e32 v6, vcc_lo, s3, v6, vcc_lo
	s_wait_loadcnt_dscnt 0x0
	v_mul_f32_e32 v9, v2, v8
	v_mul_f32_e32 v8, v1, v8
	s_delay_alu instid0(VALU_DEP_2) | instskip(NEXT) | instid1(VALU_DEP_2)
	v_fmac_f32_e32 v9, v1, v7
	v_fma_f32 v7, v7, v2, -v8
	s_delay_alu instid0(VALU_DEP_2) | instskip(NEXT) | instid1(VALU_DEP_2)
	v_cvt_f64_f32_e32 v[1:2], v9
	v_cvt_f64_f32_e32 v[7:8], v7
	s_delay_alu instid0(VALU_DEP_2) | instskip(NEXT) | instid1(VALU_DEP_2)
	v_mul_f64_e32 v[1:2], s[0:1], v[1:2]
	v_mul_f64_e32 v[7:8], s[0:1], v[7:8]
	s_delay_alu instid0(VALU_DEP_2) | instskip(NEXT) | instid1(VALU_DEP_2)
	v_cvt_f32_f64_e32 v1, v[1:2]
	v_cvt_f32_f64_e32 v2, v[7:8]
	global_store_b64 v[5:6], v[1:2], off
	global_load_b64 v[1:2], v101, s[8:9] offset:7488
	v_add_co_u32 v5, vcc_lo, v5, s2
	s_wait_alu 0xfffd
	v_add_co_ci_u32_e32 v6, vcc_lo, s3, v6, vcc_lo
	s_wait_loadcnt 0x0
	v_mul_f32_e32 v7, v4, v2
	v_mul_f32_e32 v2, v3, v2
	s_delay_alu instid0(VALU_DEP_2) | instskip(NEXT) | instid1(VALU_DEP_2)
	v_fmac_f32_e32 v7, v3, v1
	v_fma_f32 v3, v1, v4, -v2
	s_delay_alu instid0(VALU_DEP_2) | instskip(NEXT) | instid1(VALU_DEP_2)
	v_cvt_f64_f32_e32 v[1:2], v7
	v_cvt_f64_f32_e32 v[3:4], v3
	s_delay_alu instid0(VALU_DEP_2) | instskip(NEXT) | instid1(VALU_DEP_2)
	v_mul_f64_e32 v[1:2], s[0:1], v[1:2]
	v_mul_f64_e32 v[3:4], s[0:1], v[3:4]
	s_delay_alu instid0(VALU_DEP_2) | instskip(NEXT) | instid1(VALU_DEP_2)
	v_cvt_f32_f64_e32 v1, v[1:2]
	v_cvt_f32_f64_e32 v2, v[3:4]
	global_store_b64 v[5:6], v[1:2], off
	global_load_b64 v[7:8], v101, s[8:9] offset:8112
	v_add_nc_u32_e32 v1, 0x1c00, v105
	v_add_co_u32 v5, vcc_lo, v5, s2
	s_wait_alu 0xfffd
	v_add_co_ci_u32_e32 v6, vcc_lo, s3, v6, vcc_lo
	ds_load_2addr_b64 v[1:4], v1 offset0:118 offset1:196
	s_wait_loadcnt_dscnt 0x0
	v_mul_f32_e32 v9, v2, v8
	v_mul_f32_e32 v8, v1, v8
	s_delay_alu instid0(VALU_DEP_2) | instskip(NEXT) | instid1(VALU_DEP_2)
	v_fmac_f32_e32 v9, v1, v7
	v_fma_f32 v7, v7, v2, -v8
	s_delay_alu instid0(VALU_DEP_2) | instskip(NEXT) | instid1(VALU_DEP_2)
	v_cvt_f64_f32_e32 v[1:2], v9
	v_cvt_f64_f32_e32 v[7:8], v7
	s_delay_alu instid0(VALU_DEP_2) | instskip(NEXT) | instid1(VALU_DEP_2)
	v_mul_f64_e32 v[1:2], s[0:1], v[1:2]
	v_mul_f64_e32 v[7:8], s[0:1], v[7:8]
	s_delay_alu instid0(VALU_DEP_2) | instskip(NEXT) | instid1(VALU_DEP_2)
	v_cvt_f32_f64_e32 v1, v[1:2]
	v_cvt_f32_f64_e32 v2, v[7:8]
	global_store_b64 v[5:6], v[1:2], off
	global_load_b64 v[1:2], v101, s[8:9] offset:8736
	s_wait_loadcnt 0x0
	v_mul_f32_e32 v7, v4, v2
	v_mul_f32_e32 v2, v3, v2
	s_delay_alu instid0(VALU_DEP_2) | instskip(NEXT) | instid1(VALU_DEP_2)
	v_fmac_f32_e32 v7, v3, v1
	v_fma_f32 v3, v1, v4, -v2
	s_delay_alu instid0(VALU_DEP_2) | instskip(NEXT) | instid1(VALU_DEP_2)
	v_cvt_f64_f32_e32 v[1:2], v7
	v_cvt_f64_f32_e32 v[3:4], v3
	s_delay_alu instid0(VALU_DEP_2) | instskip(NEXT) | instid1(VALU_DEP_2)
	v_mul_f64_e32 v[1:2], s[0:1], v[1:2]
	v_mul_f64_e32 v[3:4], s[0:1], v[3:4]
	s_delay_alu instid0(VALU_DEP_2) | instskip(NEXT) | instid1(VALU_DEP_2)
	v_cvt_f32_f64_e32 v1, v[1:2]
	v_cvt_f32_f64_e32 v2, v[3:4]
	v_add_co_u32 v4, vcc_lo, v5, s2
	s_wait_alu 0xfffd
	v_add_co_ci_u32_e32 v5, vcc_lo, s3, v6, vcc_lo
	global_store_b64 v[4:5], v[1:2], off
	global_load_b64 v[6:7], v101, s[8:9] offset:9360
	ds_load_2addr_b64 v[0:3], v0 offset0:146 offset1:224
	v_add_co_u32 v4, vcc_lo, v4, s2
	s_wait_alu 0xfffd
	v_add_co_ci_u32_e32 v5, vcc_lo, s3, v5, vcc_lo
	s_wait_loadcnt_dscnt 0x0
	v_mul_f32_e32 v8, v1, v7
	v_mul_f32_e32 v7, v0, v7
	s_delay_alu instid0(VALU_DEP_2) | instskip(NEXT) | instid1(VALU_DEP_2)
	v_fmac_f32_e32 v8, v0, v6
	v_fma_f32 v6, v6, v1, -v7
	s_delay_alu instid0(VALU_DEP_2) | instskip(NEXT) | instid1(VALU_DEP_2)
	v_cvt_f64_f32_e32 v[0:1], v8
	v_cvt_f64_f32_e32 v[6:7], v6
	s_delay_alu instid0(VALU_DEP_2) | instskip(NEXT) | instid1(VALU_DEP_2)
	v_mul_f64_e32 v[0:1], s[0:1], v[0:1]
	v_mul_f64_e32 v[6:7], s[0:1], v[6:7]
	s_delay_alu instid0(VALU_DEP_2) | instskip(NEXT) | instid1(VALU_DEP_2)
	v_cvt_f32_f64_e32 v0, v[0:1]
	v_cvt_f32_f64_e32 v1, v[6:7]
	global_store_b64 v[4:5], v[0:1], off
	global_load_b64 v[0:1], v101, s[8:9] offset:9984
	s_wait_loadcnt 0x0
	v_mul_f32_e32 v6, v3, v1
	v_mul_f32_e32 v1, v2, v1
	s_delay_alu instid0(VALU_DEP_2) | instskip(NEXT) | instid1(VALU_DEP_2)
	v_fmac_f32_e32 v6, v2, v0
	v_fma_f32 v2, v0, v3, -v1
	s_delay_alu instid0(VALU_DEP_2) | instskip(NEXT) | instid1(VALU_DEP_2)
	v_cvt_f64_f32_e32 v[0:1], v6
	v_cvt_f64_f32_e32 v[2:3], v2
	s_delay_alu instid0(VALU_DEP_2) | instskip(NEXT) | instid1(VALU_DEP_2)
	v_mul_f64_e32 v[0:1], s[0:1], v[0:1]
	v_mul_f64_e32 v[2:3], s[0:1], v[2:3]
	s_delay_alu instid0(VALU_DEP_2) | instskip(NEXT) | instid1(VALU_DEP_2)
	v_cvt_f32_f64_e32 v0, v[0:1]
	v_cvt_f32_f64_e32 v1, v[2:3]
	v_add_co_u32 v2, vcc_lo, v4, s2
	s_wait_alu 0xfffd
	v_add_co_ci_u32_e32 v3, vcc_lo, s3, v5, vcc_lo
	global_store_b64 v[2:3], v[0:1], off
.LBB0_23:
	s_nop 0
	s_sendmsg sendmsg(MSG_DEALLOC_VGPRS)
	s_endpgm
	.section	.rodata,"a",@progbits
	.p2align	6, 0x0
	.amdhsa_kernel bluestein_single_back_len1326_dim1_sp_op_CI_CI
		.amdhsa_group_segment_fixed_size 21216
		.amdhsa_private_segment_fixed_size 0
		.amdhsa_kernarg_size 104
		.amdhsa_user_sgpr_count 2
		.amdhsa_user_sgpr_dispatch_ptr 0
		.amdhsa_user_sgpr_queue_ptr 0
		.amdhsa_user_sgpr_kernarg_segment_ptr 1
		.amdhsa_user_sgpr_dispatch_id 0
		.amdhsa_user_sgpr_private_segment_size 0
		.amdhsa_wavefront_size32 1
		.amdhsa_uses_dynamic_stack 0
		.amdhsa_enable_private_segment 0
		.amdhsa_system_sgpr_workgroup_id_x 1
		.amdhsa_system_sgpr_workgroup_id_y 0
		.amdhsa_system_sgpr_workgroup_id_z 0
		.amdhsa_system_sgpr_workgroup_info 0
		.amdhsa_system_vgpr_workitem_id 0
		.amdhsa_next_free_vgpr 227
		.amdhsa_next_free_sgpr 14
		.amdhsa_reserve_vcc 1
		.amdhsa_float_round_mode_32 0
		.amdhsa_float_round_mode_16_64 0
		.amdhsa_float_denorm_mode_32 3
		.amdhsa_float_denorm_mode_16_64 3
		.amdhsa_fp16_overflow 0
		.amdhsa_workgroup_processor_mode 1
		.amdhsa_memory_ordered 1
		.amdhsa_forward_progress 0
		.amdhsa_round_robin_scheduling 0
		.amdhsa_exception_fp_ieee_invalid_op 0
		.amdhsa_exception_fp_denorm_src 0
		.amdhsa_exception_fp_ieee_div_zero 0
		.amdhsa_exception_fp_ieee_overflow 0
		.amdhsa_exception_fp_ieee_underflow 0
		.amdhsa_exception_fp_ieee_inexact 0
		.amdhsa_exception_int_div_zero 0
	.end_amdhsa_kernel
	.text
.Lfunc_end0:
	.size	bluestein_single_back_len1326_dim1_sp_op_CI_CI, .Lfunc_end0-bluestein_single_back_len1326_dim1_sp_op_CI_CI
                                        ; -- End function
	.section	.AMDGPU.csdata,"",@progbits
; Kernel info:
; codeLenInByte = 26304
; NumSgprs: 16
; NumVgprs: 227
; ScratchSize: 0
; MemoryBound: 0
; FloatMode: 240
; IeeeMode: 1
; LDSByteSize: 21216 bytes/workgroup (compile time only)
; SGPRBlocks: 1
; VGPRBlocks: 28
; NumSGPRsForWavesPerEU: 16
; NumVGPRsForWavesPerEU: 227
; Occupancy: 6
; WaveLimiterHint : 1
; COMPUTE_PGM_RSRC2:SCRATCH_EN: 0
; COMPUTE_PGM_RSRC2:USER_SGPR: 2
; COMPUTE_PGM_RSRC2:TRAP_HANDLER: 0
; COMPUTE_PGM_RSRC2:TGID_X_EN: 1
; COMPUTE_PGM_RSRC2:TGID_Y_EN: 0
; COMPUTE_PGM_RSRC2:TGID_Z_EN: 0
; COMPUTE_PGM_RSRC2:TIDIG_COMP_CNT: 0
	.text
	.p2alignl 7, 3214868480
	.fill 96, 4, 3214868480
	.type	__hip_cuid_d57eeadc68473ac,@object ; @__hip_cuid_d57eeadc68473ac
	.section	.bss,"aw",@nobits
	.globl	__hip_cuid_d57eeadc68473ac
__hip_cuid_d57eeadc68473ac:
	.byte	0                               ; 0x0
	.size	__hip_cuid_d57eeadc68473ac, 1

	.ident	"AMD clang version 19.0.0git (https://github.com/RadeonOpenCompute/llvm-project roc-6.4.0 25133 c7fe45cf4b819c5991fe208aaa96edf142730f1d)"
	.section	".note.GNU-stack","",@progbits
	.addrsig
	.addrsig_sym __hip_cuid_d57eeadc68473ac
	.amdgpu_metadata
---
amdhsa.kernels:
  - .args:
      - .actual_access:  read_only
        .address_space:  global
        .offset:         0
        .size:           8
        .value_kind:     global_buffer
      - .actual_access:  read_only
        .address_space:  global
        .offset:         8
        .size:           8
        .value_kind:     global_buffer
      - .actual_access:  read_only
        .address_space:  global
        .offset:         16
        .size:           8
        .value_kind:     global_buffer
      - .actual_access:  read_only
        .address_space:  global
        .offset:         24
        .size:           8
        .value_kind:     global_buffer
      - .actual_access:  read_only
        .address_space:  global
        .offset:         32
        .size:           8
        .value_kind:     global_buffer
      - .offset:         40
        .size:           8
        .value_kind:     by_value
      - .address_space:  global
        .offset:         48
        .size:           8
        .value_kind:     global_buffer
      - .address_space:  global
        .offset:         56
        .size:           8
        .value_kind:     global_buffer
      - .address_space:  global
        .offset:         64
        .size:           8
        .value_kind:     global_buffer
      - .address_space:  global
        .offset:         72
        .size:           8
        .value_kind:     global_buffer
      - .offset:         80
        .size:           4
        .value_kind:     by_value
      - .address_space:  global
        .offset:         88
        .size:           8
        .value_kind:     global_buffer
      - .address_space:  global
        .offset:         96
        .size:           8
        .value_kind:     global_buffer
    .group_segment_fixed_size: 21216
    .kernarg_segment_align: 8
    .kernarg_segment_size: 104
    .language:       OpenCL C
    .language_version:
      - 2
      - 0
    .max_flat_workgroup_size: 204
    .name:           bluestein_single_back_len1326_dim1_sp_op_CI_CI
    .private_segment_fixed_size: 0
    .sgpr_count:     16
    .sgpr_spill_count: 0
    .symbol:         bluestein_single_back_len1326_dim1_sp_op_CI_CI.kd
    .uniform_work_group_size: 1
    .uses_dynamic_stack: false
    .vgpr_count:     227
    .vgpr_spill_count: 0
    .wavefront_size: 32
    .workgroup_processor_mode: 1
amdhsa.target:   amdgcn-amd-amdhsa--gfx1201
amdhsa.version:
  - 1
  - 2
...

	.end_amdgpu_metadata
